;; amdgpu-corpus repo=ROCm/rocm-examples kind=compiled arch=gfx90a opt=O3
	.text
	.amdgcn_target "amdgcn-amd-amdhsa--gfx90a"
	.amdhsa_code_object_version 6
	.section	.text._Z14transposeNaiveIiEvPT_PKS0_m,"axG",@progbits,_Z14transposeNaiveIiEvPT_PKS0_m,comdat
	.protected	_Z14transposeNaiveIiEvPT_PKS0_m ; -- Begin function _Z14transposeNaiveIiEvPT_PKS0_m
	.globl	_Z14transposeNaiveIiEvPT_PKS0_m
	.p2align	8
	.type	_Z14transposeNaiveIiEvPT_PKS0_m,@function
_Z14transposeNaiveIiEvPT_PKS0_m:        ; @_Z14transposeNaiveIiEvPT_PKS0_m
; %bb.0:
	v_bfe_u32 v2, v0, 10, 10
	v_cmp_gt_u32_e32 vcc, 64, v2
	s_and_saveexec_b64 s[0:1], vcc
	s_cbranch_execz .LBB0_3
; %bb.1:
	s_load_dwordx4 s[0:3], s[4:5], 0x0
	s_load_dwordx2 s[8:9], s[4:5], 0x10
	s_load_dword s12, s[4:5], 0x24
	v_and_b32_e32 v0, 0x3ff, v0
	v_lshl_add_u32 v4, s6, 6, v0
	s_lshl_b32 s10, s7, 6
	s_waitcnt lgkmcnt(0)
	v_mad_u64_u32 v[0:1], s[6:7], s8, v4, 0
	v_mov_b32_e32 v6, v1
	v_mad_u64_u32 v[6:7], s[6:7], s9, v4, v[6:7]
	s_mov_b32 s11, 0
	v_mov_b32_e32 v1, v6
	s_lshr_b32 s4, s12, 16
	v_lshlrev_b64 v[0:1], 2, v[0:1]
	v_lshlrev_b32_e32 v6, 2, v2
	s_lshl_b64 s[6:7], s[10:11], 2
	v_add_co_u32_e32 v0, vcc, v0, v6
	s_add_u32 s0, s0, s6
	v_addc_co_u32_e32 v1, vcc, 0, v1, vcc
	s_addc_u32 s1, s1, s7
	v_mov_b32_e32 v6, s1
	v_add_co_u32_e32 v0, vcc, s0, v0
	v_addc_co_u32_e32 v1, vcc, v6, v1, vcc
	v_add_co_u32_e32 v6, vcc, s10, v2
	v_addc_co_u32_e64 v7, s[0:1], 0, 0, vcc
	v_mul_lo_u32 v8, s9, v6
	v_mul_lo_u32 v9, s8, v7
	v_mad_u64_u32 v[6:7], s[0:1], s8, v6, 0
	v_mov_b32_e32 v5, 0
	v_add3_u32 v7, v7, v9, v8
	v_mov_b32_e32 v3, v5
	v_lshlrev_b64 v[6:7], 2, v[6:7]
	v_lshlrev_b64 v[4:5], 2, v[4:5]
	v_add_co_u32_e32 v4, vcc, v6, v4
	s_mul_i32 s0, s9, s4
	s_mul_hi_u32 s1, s8, s4
	v_addc_co_u32_e32 v5, vcc, v7, v5, vcc
	s_add_i32 s1, s1, s0
	s_mul_i32 s0, s8, s4
	v_mov_b32_e32 v6, s3
	v_add_co_u32_e32 v4, vcc, s2, v4
	s_lshl_b64 s[0:1], s[0:1], 2
	s_lshl_b32 s5, s4, 2
	v_addc_co_u32_e32 v5, vcc, v6, v5, vcc
	s_mov_b64 s[2:3], 0
	v_mov_b32_e32 v6, s11
	v_mov_b32_e32 v7, s11
	;; [unrolled: 1-line block ×3, first 2 shown]
.LBB0_2:                                ; =>This Inner Loop Header: Depth=1
	global_load_dword v9, v[4:5], off
	v_add_co_u32_e32 v2, vcc, s4, v2
	v_addc_co_u32_e32 v3, vcc, v3, v6, vcc
	v_add_co_u32_e32 v4, vcc, s0, v4
	v_addc_co_u32_e32 v5, vcc, v5, v8, vcc
	v_cmp_lt_u64_e32 vcc, 63, v[2:3]
	s_or_b64 s[2:3], vcc, s[2:3]
	s_waitcnt vmcnt(0)
	global_store_dword v[0:1], v9, off
	v_add_co_u32_e32 v0, vcc, s5, v0
	v_addc_co_u32_e32 v1, vcc, v1, v7, vcc
	s_andn2_b64 exec, exec, s[2:3]
	s_cbranch_execnz .LBB0_2
.LBB0_3:
	s_endpgm
	.section	.rodata,"a",@progbits
	.p2align	6, 0x0
	.amdhsa_kernel _Z14transposeNaiveIiEvPT_PKS0_m
		.amdhsa_group_segment_fixed_size 0
		.amdhsa_private_segment_fixed_size 0
		.amdhsa_kernarg_size 280
		.amdhsa_user_sgpr_count 6
		.amdhsa_user_sgpr_private_segment_buffer 1
		.amdhsa_user_sgpr_dispatch_ptr 0
		.amdhsa_user_sgpr_queue_ptr 0
		.amdhsa_user_sgpr_kernarg_segment_ptr 1
		.amdhsa_user_sgpr_dispatch_id 0
		.amdhsa_user_sgpr_flat_scratch_init 0
		.amdhsa_user_sgpr_kernarg_preload_length 0
		.amdhsa_user_sgpr_kernarg_preload_offset 0
		.amdhsa_user_sgpr_private_segment_size 0
		.amdhsa_uses_dynamic_stack 0
		.amdhsa_system_sgpr_private_segment_wavefront_offset 0
		.amdhsa_system_sgpr_workgroup_id_x 1
		.amdhsa_system_sgpr_workgroup_id_y 1
		.amdhsa_system_sgpr_workgroup_id_z 0
		.amdhsa_system_sgpr_workgroup_info 0
		.amdhsa_system_vgpr_workitem_id 1
		.amdhsa_next_free_vgpr 10
		.amdhsa_next_free_sgpr 13
		.amdhsa_accum_offset 12
		.amdhsa_reserve_vcc 1
		.amdhsa_reserve_flat_scratch 0
		.amdhsa_float_round_mode_32 0
		.amdhsa_float_round_mode_16_64 0
		.amdhsa_float_denorm_mode_32 3
		.amdhsa_float_denorm_mode_16_64 3
		.amdhsa_dx10_clamp 1
		.amdhsa_ieee_mode 1
		.amdhsa_fp16_overflow 0
		.amdhsa_tg_split 0
		.amdhsa_exception_fp_ieee_invalid_op 0
		.amdhsa_exception_fp_denorm_src 0
		.amdhsa_exception_fp_ieee_div_zero 0
		.amdhsa_exception_fp_ieee_overflow 0
		.amdhsa_exception_fp_ieee_underflow 0
		.amdhsa_exception_fp_ieee_inexact 0
		.amdhsa_exception_int_div_zero 0
	.end_amdhsa_kernel
	.section	.text._Z14transposeNaiveIiEvPT_PKS0_m,"axG",@progbits,_Z14transposeNaiveIiEvPT_PKS0_m,comdat
.Lfunc_end0:
	.size	_Z14transposeNaiveIiEvPT_PKS0_m, .Lfunc_end0-_Z14transposeNaiveIiEvPT_PKS0_m
                                        ; -- End function
	.section	.AMDGPU.csdata,"",@progbits
; Kernel info:
; codeLenInByte = 336
; NumSgprs: 17
; NumVgprs: 10
; NumAgprs: 0
; TotalNumVgprs: 10
; ScratchSize: 0
; MemoryBound: 0
; FloatMode: 240
; IeeeMode: 1
; LDSByteSize: 0 bytes/workgroup (compile time only)
; SGPRBlocks: 2
; VGPRBlocks: 1
; NumSGPRsForWavesPerEU: 17
; NumVGPRsForWavesPerEU: 10
; AccumOffset: 12
; Occupancy: 8
; WaveLimiterHint : 0
; COMPUTE_PGM_RSRC2:SCRATCH_EN: 0
; COMPUTE_PGM_RSRC2:USER_SGPR: 6
; COMPUTE_PGM_RSRC2:TRAP_HANDLER: 0
; COMPUTE_PGM_RSRC2:TGID_X_EN: 1
; COMPUTE_PGM_RSRC2:TGID_Y_EN: 1
; COMPUTE_PGM_RSRC2:TGID_Z_EN: 0
; COMPUTE_PGM_RSRC2:TIDIG_COMP_CNT: 1
; COMPUTE_PGM_RSRC3_GFX90A:ACCUM_OFFSET: 2
; COMPUTE_PGM_RSRC3_GFX90A:TG_SPLIT: 0
	.section	.text._Z27transposeLdsNoBankConflictsIiEvPT_PKS0_m,"axG",@progbits,_Z27transposeLdsNoBankConflictsIiEvPT_PKS0_m,comdat
	.protected	_Z27transposeLdsNoBankConflictsIiEvPT_PKS0_m ; -- Begin function _Z27transposeLdsNoBankConflictsIiEvPT_PKS0_m
	.globl	_Z27transposeLdsNoBankConflictsIiEvPT_PKS0_m
	.p2align	8
	.type	_Z27transposeLdsNoBankConflictsIiEvPT_PKS0_m,@function
_Z27transposeLdsNoBankConflictsIiEvPT_PKS0_m: ; @_Z27transposeLdsNoBankConflictsIiEvPT_PKS0_m
; %bb.0:
	s_load_dword s0, s[4:5], 0x24
	s_mov_b32 s3, 0
	s_waitcnt lgkmcnt(0)
	s_lshr_b32 s2, s0, 16
	s_cmp_gt_u32 s2, 64
	s_cselect_b32 s1, s2, 64
	s_cselect_b32 s0, 0, 0
	s_add_u32 s16, s1, -1
	s_addc_u32 s17, s0, -1
	s_mov_b32 s0, s3
	s_mov_b32 s1, s17
	s_cmp_lg_u64 s[0:1], 0
	s_mov_b64 s[0:1], -1
	s_cbranch_scc0 .LBB1_9
; %bb.1:
	v_cvt_f32_u32_e32 v1, s2
	v_mov_b32_e32 v2, 0x4f800000
	s_sub_u32 s8, 0, s2
	s_subb_u32 s9, 0, 0
	v_mac_f32_e32 v1, 0, v2
	v_rcp_f32_e32 v1, v1
	v_mul_f32_e32 v1, 0x5f7ffffc, v1
	v_mul_f32_e32 v2, 0x2f800000, v1
	v_trunc_f32_e32 v2, v2
	v_madmk_f32 v1, v2, 0xcf800000, v1
	v_cvt_u32_f32_e32 v2, v2
	v_cvt_u32_f32_e32 v1, v1
	v_readfirstlane_b32 s10, v2
	v_readfirstlane_b32 s11, v1
	s_mul_i32 s12, s8, s10
	s_mul_hi_u32 s14, s8, s11
	s_mul_i32 s13, s9, s11
	s_add_i32 s12, s14, s12
	s_add_i32 s12, s12, s13
	s_mul_i32 s15, s8, s11
	s_mul_hi_u32 s13, s11, s12
	s_mul_i32 s14, s11, s12
	s_mul_hi_u32 s11, s11, s15
	s_add_u32 s11, s11, s14
	s_addc_u32 s13, 0, s13
	s_mul_hi_u32 s18, s10, s15
	s_mul_i32 s15, s10, s15
	s_add_u32 s11, s11, s15
	s_mul_hi_u32 s14, s10, s12
	s_addc_u32 s11, s13, s18
	s_addc_u32 s13, s14, 0
	s_mul_i32 s12, s10, s12
	s_add_u32 s11, s11, s12
	s_addc_u32 s12, 0, s13
	v_add_co_u32_e32 v1, vcc, s11, v1
	s_cmp_lg_u64 vcc, 0
	s_addc_u32 s10, s10, s12
	v_readfirstlane_b32 s12, v1
	s_mul_i32 s11, s8, s10
	s_mul_hi_u32 s13, s8, s12
	s_add_i32 s11, s13, s11
	s_mul_i32 s9, s9, s12
	s_add_i32 s11, s11, s9
	s_mul_i32 s8, s8, s12
	s_mul_hi_u32 s13, s10, s8
	s_mul_i32 s14, s10, s8
	s_mul_i32 s18, s12, s11
	s_mul_hi_u32 s8, s12, s8
	s_mul_hi_u32 s15, s12, s11
	s_add_u32 s8, s8, s18
	s_addc_u32 s12, 0, s15
	s_add_u32 s8, s8, s14
	s_mul_hi_u32 s9, s10, s11
	s_addc_u32 s8, s12, s13
	s_addc_u32 s9, s9, 0
	s_mul_i32 s11, s10, s11
	s_add_u32 s8, s8, s11
	s_addc_u32 s9, 0, s9
	v_add_co_u32_e32 v1, vcc, s8, v1
	s_cmp_lg_u64 vcc, 0
	s_addc_u32 s8, s10, s9
	v_readfirstlane_b32 s11, v1
	s_mul_i32 s10, s16, s8
	s_mul_hi_u32 s12, s16, s11
	s_mul_hi_u32 s9, s16, s8
	s_add_u32 s10, s12, s10
	s_addc_u32 s9, 0, s9
	s_mul_hi_u32 s13, s17, s11
	s_mul_i32 s11, s17, s11
	s_add_u32 s10, s10, s11
	s_mul_hi_u32 s12, s17, s8
	s_addc_u32 s9, s9, s13
	s_addc_u32 s10, s12, 0
	s_mul_i32 s8, s17, s8
	s_add_u32 s8, s9, s8
	s_addc_u32 s9, 0, s10
	s_add_u32 s10, s8, 1
	s_addc_u32 s11, s9, 0
	s_add_u32 s12, s8, 2
	s_mul_i32 s14, s2, s9
	s_mul_hi_u32 s15, s2, s8
	s_addc_u32 s13, s9, 0
	s_add_i32 s15, s15, s14
	s_mul_i32 s14, s2, s8
	v_mov_b32_e32 v1, s14
	v_sub_co_u32_e32 v1, vcc, s16, v1
	s_cmp_lg_u64 vcc, 0
	s_subb_u32 s14, s17, s15
	v_subrev_co_u32_e32 v2, vcc, s2, v1
	s_cmp_lg_u64 vcc, 0
	s_subb_u32 s15, s14, 0
	v_readfirstlane_b32 s18, v2
	s_cmp_ge_u32 s18, s2
	s_cselect_b32 s18, -1, 0
	s_cmp_eq_u32 s15, 0
	s_cselect_b32 s15, s18, -1
	s_cmp_lg_u32 s15, 0
	s_cselect_b32 s10, s12, s10
	v_readfirstlane_b32 s12, v1
	s_cselect_b32 s11, s13, s11
	s_cmp_ge_u32 s12, s2
	s_cselect_b32 s12, -1, 0
	s_cmp_eq_u32 s14, 0
	s_cselect_b32 s12, s12, -1
	s_cmp_lg_u32 s12, 0
	s_cselect_b32 s15, s11, s9
	s_cselect_b32 s14, s10, s8
	s_cbranch_execnz .LBB1_3
.LBB1_2:
	v_cvt_f32_u32_e32 v1, s2
	s_sub_i32 s0, 0, s2
	s_mov_b32 s15, 0
	v_rcp_iflag_f32_e32 v1, v1
	v_mul_f32_e32 v1, 0x4f7ffffe, v1
	v_cvt_u32_f32_e32 v1, v1
	v_readfirstlane_b32 s1, v1
	s_mul_i32 s0, s0, s1
	s_mul_hi_u32 s0, s1, s0
	s_add_i32 s1, s1, s0
	s_mul_hi_u32 s0, s16, s1
	s_mul_i32 s8, s0, s2
	s_sub_i32 s8, s16, s8
	s_add_i32 s1, s0, 1
	s_sub_i32 s9, s8, s2
	s_cmp_ge_u32 s8, s2
	s_cselect_b32 s0, s1, s0
	s_cselect_b32 s8, s9, s8
	s_add_i32 s1, s0, 1
	s_cmp_ge_u32 s8, s2
	s_cselect_b32 s14, s1, s0
.LBB1_3:
	s_load_dwordx4 s[8:11], s[4:5], 0x0
	s_load_dwordx2 s[12:13], s[4:5], 0x10
	s_lshl_b32 s23, s6, 6
	v_and_b32_e32 v7, 0x3ff, v0
	s_lshl_b32 s24, s7, 6
	v_pk_mov_b32 v[8:9], s[2:3], s[2:3] op_sel:[0,1]
	v_add_u32_e32 v4, s23, v7
	v_mov_b32_e32 v5, 0
	v_bfe_u32 v0, v0, 10, 10
	s_add_u32 s14, s14, 1
	v_cmp_ge_u64_e32 vcc, s[16:17], v[8:9]
	s_mov_b32 s0, 0
	v_add_u32_e32 v2, s24, v0
	v_mov_b32_e32 v3, v5
	s_addc_u32 s15, s15, 0
	v_lshlrev_b64 v[4:5], 2, v[4:5]
	s_cbranch_vccz .LBB1_8
; %bb.4:
	s_waitcnt lgkmcnt(0)
	v_mad_u64_u32 v[8:9], s[4:5], v2, s12, 0
	v_mov_b32_e32 v6, v9
	v_mad_u64_u32 v[10:11], s[4:5], v2, s13, v[6:7]
	v_mov_b32_e32 v9, v10
	v_lshlrev_b64 v[8:9], 2, v[8:9]
	v_mov_b32_e32 v1, s11
	v_add_co_u32_e32 v6, vcc, s10, v8
	v_addc_co_u32_e32 v1, vcc, v1, v9, vcc
	v_add_co_u32_e32 v8, vcc, v6, v4
	s_and_b32 s18, s14, -2
	s_mov_b32 s19, s15
	s_mov_b32 s1, s0
	s_lshl_b32 s22, s2, 1
	s_mov_b64 s[6:7], s[2:3]
	v_addc_co_u32_e32 v9, vcc, v1, v5, vcc
	s_mov_b32 s25, s22
	s_mov_b32 s26, s12
	;; [unrolled: 1-line block ×3, first 2 shown]
	v_mov_b32_e32 v1, v0
	v_lshlrev_b32_e32 v6, 2, v7
	s_movk_i32 s28, 0x104
	s_mov_b64 s[20:21], s[18:19]
	s_mov_b64 s[4:5], s[0:1]
.LBB1_5:                                ; =>This Inner Loop Header: Depth=1
	s_mul_i32 s1, s6, s27
	s_mul_hi_u32 s29, s6, s26
	s_mul_i32 s33, s4, s13
	s_mul_hi_u32 s34, s4, s12
	s_mul_i32 s31, s7, s26
	s_mul_i32 s35, s5, s12
	s_add_i32 s1, s29, s1
	s_add_i32 s29, s34, s33
	s_mul_i32 s0, s6, s26
	s_mul_i32 s30, s4, s12
	s_add_i32 s1, s1, s31
	s_add_i32 s31, s29, s35
	s_lshl_b64 s[30:31], s[30:31], 2
	s_lshl_b64 s[0:1], s[0:1], 2
	v_mov_b32_e32 v11, s31
	v_mov_b32_e32 v14, s1
	v_add_co_u32_e32 v10, vcc, s0, v8
	v_add_co_u32_e64 v12, s[0:1], s30, v8
	v_addc_co_u32_e64 v13, s[0:1], v9, v11, s[0:1]
	v_addc_co_u32_e32 v11, vcc, v9, v14, vcc
	global_load_dword v14, v[12:13], off
	global_load_dword v15, v[10:11], off
	v_add_u32_e32 v12, s6, v1
	s_add_u32 s6, s6, s25
	s_addc_u32 s7, s7, 0
	v_add_u32_e32 v10, s4, v0
	s_add_u32 s4, s4, s22
	s_addc_u32 s5, s5, 0
	s_add_u32 s20, s20, -2
	s_addc_u32 s21, s21, -1
	v_mad_u64_u32 v[10:11], s[0:1], v10, s28, v[6:7]
	s_cmp_lg_u64 s[20:21], 0
	v_mad_u64_u32 v[12:13], s[0:1], v12, s28, v[6:7]
	s_waitcnt vmcnt(1)
	ds_write_b32 v10, v14
	s_waitcnt vmcnt(0)
	ds_write_b32 v12, v15
	s_cbranch_scc1 .LBB1_5
; %bb.6:
	s_mul_i32 s0, s19, s2
	s_mul_hi_u32 s1, s18, s2
	s_add_i32 s1, s1, s0
	s_cmp_lg_u64 s[14:15], s[18:19]
	s_mul_i32 s0, s18, s2
	s_cbranch_scc1 .LBB1_10
; %bb.7:
	s_mov_b64 s[4:5], 0
	s_mov_b32 s20, s2
	s_branch .LBB1_12
.LBB1_8:
	s_mov_b64 s[4:5], -1
	s_mov_b64 s[0:1], 0
	s_branch .LBB1_11
.LBB1_9:
                                        ; implicit-def: $sgpr14_sgpr15
	s_andn2_b64 vcc, exec, s[0:1]
	s_cbranch_vccz .LBB1_2
	s_branch .LBB1_3
.LBB1_10:
	s_mov_b64 s[4:5], -1
.LBB1_11:
                                        ; implicit-def: $sgpr20
.LBB1_12:
	s_and_b64 vcc, exec, s[4:5]
	s_waitcnt lgkmcnt(0)
	s_mul_i32 s21, s13, s2
	s_mul_hi_u32 s22, s12, s2
	s_mul_i32 s18, s12, s2
	s_cbranch_vccz .LBB1_15
; %bb.13:
	s_lshl_b64 s[4:5], s[0:1], 2
	v_lshlrev_b64 v[2:3], 2, v[2:3]
	v_mov_b32_e32 v1, s5
	v_add_co_u32_e32 v2, vcc, s4, v2
	v_addc_co_u32_e32 v1, vcc, v1, v3, vcc
	v_mul_lo_u32 v1, s12, v1
	v_mul_lo_u32 v6, s13, v2
	v_mad_u64_u32 v[2:3], s[4:5], s12, v2, v[4:5]
	v_add3_u32 v1, v6, v3, v1
	v_mov_b32_e32 v3, s11
	v_add_co_u32_e32 v2, vcc, s10, v2
	v_addc_co_u32_e32 v3, vcc, v3, v1, vcc
	s_add_i32 s19, s22, s21
	v_add_u32_e32 v1, s0, v0
	s_movk_i32 s6, 0x104
	s_and_b32 s20, 0xffff, s2
	s_lshl_b64 s[4:5], s[18:19], 2
	v_mul_lo_u32 v1, v1, s6
	v_lshl_add_u32 v1, v7, 2, v1
	s_mul_i32 s6, s20, 0x104
	v_mov_b32_e32 v4, s5
.LBB1_14:                               ; =>This Inner Loop Header: Depth=1
	global_load_dword v5, v[2:3], off
	s_add_u32 s0, s0, s2
	v_add_co_u32_e32 v2, vcc, s4, v2
	s_addc_u32 s1, s1, 0
	v_addc_co_u32_e32 v3, vcc, v3, v4, vcc
	v_cmp_gt_u64_e64 s[10:11], s[0:1], 63
	s_and_b64 vcc, exec, s[10:11]
	s_waitcnt vmcnt(0)
	ds_write_b32 v1, v5
	v_add_u32_e32 v1, s6, v1
	s_cbranch_vccz .LBB1_14
.LBB1_15:
	v_pk_mov_b32 v[8:9], s[2:3], s[2:3] op_sel:[0,1]
	s_cmp_eq_u32 s20, 1
	v_cmp_ge_u64_e32 vcc, s[16:17], v[8:9]
	s_cselect_b64 s[0:1], -1, 0
	s_and_b64 s[0:1], vcc, s[0:1]
	v_add_u32_e32 v4, s24, v7
	v_add_u32_e32 v2, s23, v0
	v_mov_b32_e32 v3, 0
	s_and_b64 vcc, exec, s[0:1]
	s_waitcnt lgkmcnt(0)
	s_barrier
	s_cbranch_vccnz .LBB1_17
; %bb.16:
	v_mul_u32_u24_e32 v1, 0x104, v7
	s_mov_b64 s[0:1], -1
	s_mov_b64 s[4:5], 0
	v_mov_b32_e32 v5, v3
	v_lshlrev_b64 v[4:5], 2, v[4:5]
	s_cbranch_execz .LBB1_18
	s_branch .LBB1_21
.LBB1_17:
	s_mov_b64 s[0:1], 0
                                        ; implicit-def: $sgpr4_sgpr5
                                        ; implicit-def: $vgpr1
	v_mov_b32_e32 v5, v3
	v_lshlrev_b64 v[4:5], 2, v[4:5]
.LBB1_18:
	v_mad_u64_u32 v[8:9], s[0:1], v2, s12, 0
	v_mov_b32_e32 v6, v9
	v_mad_u64_u32 v[10:11], s[0:1], v2, s13, v[6:7]
	v_mov_b32_e32 v9, v10
	v_lshlrev_b64 v[8:9], 2, v[8:9]
	v_mov_b32_e32 v1, s9
	v_add_co_u32_e32 v6, vcc, s8, v8
	v_addc_co_u32_e32 v1, vcc, v1, v9, vcc
	v_add_co_u32_e32 v6, vcc, v6, v4
	s_mov_b32 s0, 0
	s_movk_i32 s4, 0x104
	v_lshlrev_b32_e32 v9, 2, v0
	v_addc_co_u32_e32 v8, vcc, v1, v5, vcc
	s_and_b32 s10, s14, -2
	s_mov_b32 s11, s15
	s_mov_b32 s1, s0
	v_mul_u32_u24_e32 v1, 0x104, v7
	v_mad_u32_u24 v7, v7, s4, v9
	s_mov_b64 s[6:7], s[2:3]
	s_mov_b32 s19, s12
	s_mov_b32 s23, s13
	s_mov_b64 s[16:17], s[10:11]
	s_mov_b64 s[4:5], s[0:1]
.LBB1_19:                               ; =>This Inner Loop Header: Depth=1
	s_mul_i32 s1, s6, s23
	s_mul_hi_u32 s3, s6, s19
	s_mul_i32 s26, s4, s13
	s_mul_hi_u32 s27, s4, s12
	s_mul_i32 s25, s7, s19
	s_mul_i32 s28, s5, s12
	s_add_i32 s1, s3, s1
	s_add_i32 s3, s27, s26
	s_mul_i32 s0, s6, s19
	s_mul_i32 s24, s4, s12
	s_add_i32 s1, s1, s25
	s_add_i32 s25, s3, s28
	s_lshl_b64 s[24:25], s[24:25], 2
	s_lshl_b64 s[0:1], s[0:1], 2
	v_mov_b32_e32 v9, s25
	v_mov_b32_e32 v15, s1
	v_add_co_u32_e32 v14, vcc, s0, v6
	v_add_co_u32_e64 v16, s[0:1], s24, v6
	s_add_u32 s3, s4, 2
	v_addc_co_u32_e64 v17, s[0:1], v8, v9, s[0:1]
	s_addc_u32 s1, s5, 0
	s_mul_i32 s25, s3, s13
	s_mul_hi_u32 s26, s3, s12
	s_mul_i32 s0, s3, s12
	s_add_u32 s3, s6, 2
	s_addc_u32 s27, s7, 0
	s_mul_i32 s28, s3, s23
	s_mul_hi_u32 s29, s3, s19
	s_mul_i32 s1, s1, s12
	s_mul_i32 s24, s3, s19
	s_add_i32 s3, s26, s25
	s_add_i32 s25, s29, s28
	s_mul_i32 s27, s27, s19
	s_add_i32 s1, s3, s1
	s_add_i32 s25, s25, s27
	ds_read2_b32 v[10:11], v7 offset1:1
	ds_read2_b32 v[12:13], v7 offset0:2 offset1:3
	s_lshl_b64 s[0:1], s[0:1], 2
	s_lshl_b64 s[24:25], s[24:25], 2
	s_add_u32 s6, s6, 4
	s_addc_u32 s7, s7, 0
	v_addc_co_u32_e32 v15, vcc, v8, v15, vcc
	s_add_u32 s4, s4, 4
	s_waitcnt lgkmcnt(1)
	global_store_dword v[16:17], v10, off
	global_store_dword v[14:15], v11, off
	v_mov_b32_e32 v9, s1
	v_add_co_u32_e32 v10, vcc, s0, v6
	s_addc_u32 s5, s5, 0
	v_addc_co_u32_e32 v11, vcc, v8, v9, vcc
	s_add_u32 s16, s16, -4
	v_mov_b32_e32 v9, s25
	v_add_co_u32_e32 v14, vcc, s24, v6
	s_addc_u32 s17, s17, -1
	v_add_u32_e32 v7, 16, v7
	v_addc_co_u32_e32 v15, vcc, v8, v9, vcc
	s_cmp_lg_u64 s[16:17], 0
	s_waitcnt lgkmcnt(0)
	global_store_dword v[10:11], v12, off
	global_store_dword v[14:15], v13, off
	s_cbranch_scc1 .LBB1_19
; %bb.20:
	s_mul_i32 s0, s11, s2
	s_mul_hi_u32 s1, s10, s2
	s_add_i32 s5, s1, s0
	s_cmp_lg_u64 s[14:15], s[10:11]
	s_mul_i32 s4, s10, s2
	s_cselect_b64 s[0:1], -1, 0
.LBB1_21:
	s_and_b64 vcc, exec, s[0:1]
	s_cbranch_vccz .LBB1_24
; %bb.22:
	s_lshl_b64 s[0:1], s[4:5], 2
	v_lshlrev_b64 v[2:3], 2, v[2:3]
	v_mov_b32_e32 v6, s1
	v_add_co_u32_e32 v2, vcc, s0, v2
	v_addc_co_u32_e32 v3, vcc, v6, v3, vcc
	v_mul_lo_u32 v6, s12, v3
	v_mul_lo_u32 v7, s13, v2
	v_mad_u64_u32 v[2:3], s[0:1], s12, v2, v[4:5]
	s_add_i32 s19, s22, s21
	v_add3_u32 v3, v7, v3, v6
	v_mov_b32_e32 v4, s9
	v_add_co_u32_e32 v2, vcc, s8, v2
	s_lshl_b64 s[6:7], s[18:19], 2
	v_add_u32_e32 v0, s4, v0
	v_addc_co_u32_e32 v3, vcc, v4, v3, vcc
	v_lshl_add_u32 v0, v0, 2, v1
	s_lshl_b32 s3, s20, 2
	v_mov_b32_e32 v1, s7
.LBB1_23:                               ; =>This Inner Loop Header: Depth=1
	ds_read_b32 v4, v0
	s_add_u32 s4, s4, s2
	s_addc_u32 s5, s5, 0
	v_cmp_gt_u64_e64 s[0:1], s[4:5], 63
	s_and_b64 vcc, exec, s[0:1]
	s_waitcnt lgkmcnt(0)
	global_store_dword v[2:3], v4, off
	v_add_co_u32_e64 v2, s[0:1], s6, v2
	v_add_u32_e32 v0, s3, v0
	v_addc_co_u32_e64 v3, s[0:1], v3, v1, s[0:1]
	s_cbranch_vccz .LBB1_23
.LBB1_24:
	s_endpgm
	.section	.rodata,"a",@progbits
	.p2align	6, 0x0
	.amdhsa_kernel _Z27transposeLdsNoBankConflictsIiEvPT_PKS0_m
		.amdhsa_group_segment_fixed_size 16640
		.amdhsa_private_segment_fixed_size 0
		.amdhsa_kernarg_size 280
		.amdhsa_user_sgpr_count 6
		.amdhsa_user_sgpr_private_segment_buffer 1
		.amdhsa_user_sgpr_dispatch_ptr 0
		.amdhsa_user_sgpr_queue_ptr 0
		.amdhsa_user_sgpr_kernarg_segment_ptr 1
		.amdhsa_user_sgpr_dispatch_id 0
		.amdhsa_user_sgpr_flat_scratch_init 0
		.amdhsa_user_sgpr_kernarg_preload_length 0
		.amdhsa_user_sgpr_kernarg_preload_offset 0
		.amdhsa_user_sgpr_private_segment_size 0
		.amdhsa_uses_dynamic_stack 0
		.amdhsa_system_sgpr_private_segment_wavefront_offset 0
		.amdhsa_system_sgpr_workgroup_id_x 1
		.amdhsa_system_sgpr_workgroup_id_y 1
		.amdhsa_system_sgpr_workgroup_id_z 0
		.amdhsa_system_sgpr_workgroup_info 0
		.amdhsa_system_vgpr_workitem_id 1
		.amdhsa_next_free_vgpr 18
		.amdhsa_next_free_sgpr 36
		.amdhsa_accum_offset 20
		.amdhsa_reserve_vcc 1
		.amdhsa_reserve_flat_scratch 0
		.amdhsa_float_round_mode_32 0
		.amdhsa_float_round_mode_16_64 0
		.amdhsa_float_denorm_mode_32 3
		.amdhsa_float_denorm_mode_16_64 3
		.amdhsa_dx10_clamp 1
		.amdhsa_ieee_mode 1
		.amdhsa_fp16_overflow 0
		.amdhsa_tg_split 0
		.amdhsa_exception_fp_ieee_invalid_op 0
		.amdhsa_exception_fp_denorm_src 0
		.amdhsa_exception_fp_ieee_div_zero 0
		.amdhsa_exception_fp_ieee_overflow 0
		.amdhsa_exception_fp_ieee_underflow 0
		.amdhsa_exception_fp_ieee_inexact 0
		.amdhsa_exception_int_div_zero 0
	.end_amdhsa_kernel
	.section	.text._Z27transposeLdsNoBankConflictsIiEvPT_PKS0_m,"axG",@progbits,_Z27transposeLdsNoBankConflictsIiEvPT_PKS0_m,comdat
.Lfunc_end1:
	.size	_Z27transposeLdsNoBankConflictsIiEvPT_PKS0_m, .Lfunc_end1-_Z27transposeLdsNoBankConflictsIiEvPT_PKS0_m
                                        ; -- End function
	.section	.AMDGPU.csdata,"",@progbits
; Kernel info:
; codeLenInByte = 1936
; NumSgprs: 40
; NumVgprs: 18
; NumAgprs: 0
; TotalNumVgprs: 18
; ScratchSize: 0
; MemoryBound: 0
; FloatMode: 240
; IeeeMode: 1
; LDSByteSize: 16640 bytes/workgroup (compile time only)
; SGPRBlocks: 4
; VGPRBlocks: 2
; NumSGPRsForWavesPerEU: 40
; NumVGPRsForWavesPerEU: 18
; AccumOffset: 20
; Occupancy: 8
; WaveLimiterHint : 0
; COMPUTE_PGM_RSRC2:SCRATCH_EN: 0
; COMPUTE_PGM_RSRC2:USER_SGPR: 6
; COMPUTE_PGM_RSRC2:TRAP_HANDLER: 0
; COMPUTE_PGM_RSRC2:TGID_X_EN: 1
; COMPUTE_PGM_RSRC2:TGID_Y_EN: 1
; COMPUTE_PGM_RSRC2:TGID_Z_EN: 0
; COMPUTE_PGM_RSRC2:TIDIG_COMP_CNT: 1
; COMPUTE_PGM_RSRC3_GFX90A:ACCUM_OFFSET: 4
; COMPUTE_PGM_RSRC3_GFX90A:TG_SPLIT: 0
	.section	.text._Z23transposeLdsSwapInplaceIiEvPT_PKS0_m,"axG",@progbits,_Z23transposeLdsSwapInplaceIiEvPT_PKS0_m,comdat
	.protected	_Z23transposeLdsSwapInplaceIiEvPT_PKS0_m ; -- Begin function _Z23transposeLdsSwapInplaceIiEvPT_PKS0_m
	.globl	_Z23transposeLdsSwapInplaceIiEvPT_PKS0_m
	.p2align	8
	.type	_Z23transposeLdsSwapInplaceIiEvPT_PKS0_m,@function
_Z23transposeLdsSwapInplaceIiEvPT_PKS0_m: ; @_Z23transposeLdsSwapInplaceIiEvPT_PKS0_m
; %bb.0:
	s_load_dwordx4 s[8:11], s[4:5], 0x0
	s_load_dwordx2 s[12:13], s[4:5], 0x10
	v_and_b32_e32 v6, 0x3ff, v0
	v_bfe_u32 v0, v0, 10, 10
	s_lshl_b32 s6, s6, 6
	v_mov_b32_e32 v1, 0
	v_cmp_gt_u32_e64 s[0:1], 64, v0
	s_and_saveexec_b64 s[14:15], s[0:1]
	s_cbranch_execz .LBB2_12
; %bb.1:
	s_load_dword s2, s[4:5], 0x24
	s_mov_b32 s19, 0
                                        ; implicit-def: $vgpr8_vgpr9
	s_waitcnt lgkmcnt(0)
	s_lshr_b32 s18, s2, 16
	v_add_co_u32_e32 v4, vcc, s18, v0
	v_addc_co_u32_e64 v5, s[2:3], 0, 0, vcc
	v_cmp_lt_u64_e32 vcc, 64, v[4:5]
	v_cndmask_b32_e32 v7, 0, v5, vcc
	v_cndmask_b32_e32 v3, 64, v4, vcc
	v_cmp_gt_u64_e32 vcc, 64, v[4:5]
	v_cndmask_b32_e64 v2, 0, 1, vcc
	v_add_co_u32_e32 v4, vcc, v4, v2
	v_addc_co_u32_e32 v5, vcc, 0, v5, vcc
	v_sub_co_u32_e32 v3, vcc, v3, v4
	v_subb_co_u32_e32 v5, vcc, v7, v5, vcc
	v_mov_b32_e32 v4, v1
	v_cmp_ne_u64_e32 vcc, 0, v[4:5]
	s_and_saveexec_b64 s[2:3], vcc
	s_xor_b64 s[16:17], exec, s[2:3]
	s_cbranch_execz .LBB2_3
; %bb.2:
	v_cvt_f32_u32_e32 v4, s18
	v_mov_b32_e32 v7, 0x4f800000
	s_sub_u32 s2, 0, s18
	s_subb_u32 s3, 0, 0
	v_mac_f32_e32 v4, 0, v7
	v_rcp_f32_e32 v4, v4
	v_mul_f32_e32 v4, 0x5f7ffffc, v4
	v_mul_f32_e32 v7, 0x2f800000, v4
	v_trunc_f32_e32 v7, v7
	v_madmk_f32 v4, v7, 0xcf800000, v4
	v_cvt_u32_f32_e32 v7, v7
	v_cvt_u32_f32_e32 v4, v4
	v_mul_lo_u32 v8, s2, v7
	v_mul_hi_u32 v10, s2, v4
	v_mul_lo_u32 v9, s3, v4
	v_add_u32_e32 v8, v10, v8
	v_mul_lo_u32 v11, s2, v4
	v_add_u32_e32 v8, v8, v9
	v_mul_hi_u32 v10, v4, v11
	v_mul_lo_u32 v12, v4, v8
	v_mul_hi_u32 v9, v4, v8
	v_add_co_u32_e32 v10, vcc, v10, v12
	v_addc_co_u32_e32 v9, vcc, 0, v9, vcc
	v_mul_hi_u32 v13, v7, v11
	v_mul_lo_u32 v11, v7, v11
	v_add_co_u32_e32 v10, vcc, v10, v11
	v_mul_hi_u32 v12, v7, v8
	v_addc_co_u32_e32 v9, vcc, v9, v13, vcc
	v_addc_co_u32_e32 v10, vcc, 0, v12, vcc
	v_mul_lo_u32 v8, v7, v8
	v_add_co_u32_e32 v8, vcc, v9, v8
	v_addc_co_u32_e32 v9, vcc, 0, v10, vcc
	v_add_co_u32_e32 v4, vcc, v4, v8
	v_addc_co_u32_e32 v7, vcc, v7, v9, vcc
	v_mul_lo_u32 v8, s2, v7
	v_mul_hi_u32 v9, s2, v4
	v_add_u32_e32 v8, v9, v8
	v_mul_lo_u32 v9, s3, v4
	v_add_u32_e32 v8, v8, v9
	v_mul_lo_u32 v10, s2, v4
	v_mul_hi_u32 v11, v7, v10
	v_mul_lo_u32 v12, v7, v10
	v_mul_lo_u32 v14, v4, v8
	v_mul_hi_u32 v10, v4, v10
	v_mul_hi_u32 v13, v4, v8
	v_add_co_u32_e32 v10, vcc, v10, v14
	v_addc_co_u32_e32 v13, vcc, 0, v13, vcc
	v_add_co_u32_e32 v10, vcc, v10, v12
	v_mul_hi_u32 v9, v7, v8
	v_addc_co_u32_e32 v10, vcc, v13, v11, vcc
	v_addc_co_u32_e32 v9, vcc, 0, v9, vcc
	v_mul_lo_u32 v8, v7, v8
	v_add_co_u32_e32 v8, vcc, v10, v8
	v_addc_co_u32_e32 v9, vcc, 0, v9, vcc
	v_add_co_u32_e32 v4, vcc, v4, v8
	v_addc_co_u32_e32 v7, vcc, v7, v9, vcc
	v_mad_u64_u32 v[8:9], s[2:3], v3, v7, 0
	v_mul_hi_u32 v10, v3, v4
	v_add_co_u32_e32 v12, vcc, v10, v8
	v_addc_co_u32_e32 v13, vcc, 0, v9, vcc
	v_mad_u64_u32 v[10:11], s[2:3], v5, v4, 0
	v_add_co_u32_e32 v4, vcc, v12, v10
	v_mad_u64_u32 v[8:9], s[2:3], v5, v7, 0
	v_addc_co_u32_e32 v4, vcc, v13, v11, vcc
	v_addc_co_u32_e32 v7, vcc, 0, v9, vcc
	v_add_co_u32_e32 v12, vcc, v4, v8
	v_mad_u64_u32 v[8:9], s[2:3], s18, v12, 0
	v_addc_co_u32_e32 v7, vcc, 0, v7, vcc
	v_mov_b32_e32 v4, v9
	v_mad_u64_u32 v[10:11], s[2:3], s18, v7, v[4:5]
	v_sub_co_u32_e32 v3, vcc, v3, v8
	v_subb_co_u32_e32 v4, vcc, v5, v10, vcc
	v_subrev_co_u32_e32 v5, vcc, s18, v3
	v_subbrev_co_u32_e32 v8, vcc, 0, v4, vcc
	v_cmp_le_u32_e32 vcc, s18, v5
	v_cndmask_b32_e64 v5, 0, -1, vcc
	v_cmp_eq_u32_e32 vcc, 0, v8
	v_cndmask_b32_e32 v5, -1, v5, vcc
	v_add_co_u32_e32 v8, vcc, 2, v12
	v_addc_co_u32_e32 v9, vcc, 0, v7, vcc
	v_add_co_u32_e32 v10, vcc, 1, v12
	v_cmp_le_u32_e64 s[2:3], s18, v3
	v_addc_co_u32_e32 v11, vcc, 0, v7, vcc
	v_cndmask_b32_e64 v3, 0, -1, s[2:3]
	v_cmp_eq_u32_e64 s[2:3], 0, v4
	v_cmp_ne_u32_e32 vcc, 0, v5
	v_cndmask_b32_e64 v3, -1, v3, s[2:3]
	v_cndmask_b32_e32 v5, v11, v9, vcc
	v_cmp_ne_u32_e64 s[2:3], 0, v3
	v_cndmask_b32_e32 v3, v10, v8, vcc
	v_cndmask_b32_e64 v9, v7, v5, s[2:3]
	v_cndmask_b32_e64 v8, v12, v3, s[2:3]
                                        ; implicit-def: $vgpr3
.LBB2_3:
	s_andn2_saveexec_b64 s[2:3], s[16:17]
	s_cbranch_execz .LBB2_5
; %bb.4:
	v_cvt_f32_u32_e32 v4, s18
	s_sub_i32 s16, 0, s18
	v_mov_b32_e32 v9, 0
	v_rcp_iflag_f32_e32 v4, v4
	v_mul_f32_e32 v4, 0x4f7ffffe, v4
	v_cvt_u32_f32_e32 v4, v4
	v_mul_lo_u32 v5, s16, v4
	v_mul_hi_u32 v5, v4, v5
	v_add_u32_e32 v4, v4, v5
	v_mul_hi_u32 v4, v3, v4
	v_mul_lo_u32 v5, v4, s18
	v_sub_u32_e32 v3, v3, v5
	v_add_u32_e32 v7, 1, v4
	v_subrev_u32_e32 v5, s18, v3
	v_cmp_le_u32_e32 vcc, s18, v3
	v_cndmask_b32_e32 v3, v3, v5, vcc
	v_cndmask_b32_e32 v4, v4, v7, vcc
	v_add_u32_e32 v5, 1, v4
	v_cmp_le_u32_e32 vcc, s18, v3
	v_cndmask_b32_e32 v8, v4, v5, vcc
.LBB2_5:
	s_or_b64 exec, exec, s[2:3]
	v_add_co_u32_e32 v2, vcc, v8, v2
	v_addc_co_u32_e32 v3, vcc, 0, v9, vcc
	v_add_co_u32_e32 v10, vcc, 1, v2
	v_add_u32_e32 v4, s6, v6
	v_mov_b32_e32 v5, 0
	v_addc_co_u32_e32 v11, vcc, 0, v3, vcc
	s_lshl_b32 s20, s7, 6
	v_cmp_lt_u64_e32 vcc, 1, v[10:11]
	s_mov_b64 s[16:17], -1
	v_lshlrev_b64 v[8:9], 2, v[4:5]
	v_pk_mov_b32 v[2:3], v[0:1], v[0:1] op_sel:[0,1]
	s_and_saveexec_b64 s[2:3], vcc
	s_cbranch_execz .LBB2_9
; %bb.6:
	v_mov_b32_e32 v2, s11
	v_add_co_u32_e32 v7, vcc, s10, v8
	v_addc_co_u32_e32 v16, vcc, v2, v9, vcc
	v_mov_b32_e32 v3, s19
	v_add_co_u32_e32 v2, vcc, s18, v0
	v_addc_co_u32_e32 v3, vcc, 0, v3, vcc
	v_and_b32_e32 v12, -2, v10
	v_mov_b32_e32 v13, v11
	s_lshl_b32 s21, s18, 1
	s_mov_b32 s26, 0
	v_pk_mov_b32 v[4:5], v[2:3], v[2:3] op_sel:[0,1]
	s_mov_b32 s22, s21
	s_mov_b32 s23, s20
	;; [unrolled: 1-line block ×4, first 2 shown]
	s_mov_b64 s[16:17], 0
	v_mov_b32_e32 v17, s26
	v_mov_b32_e32 v18, s26
	v_lshlrev_b32_e32 v19, 2, v6
	v_mov_b32_e32 v20, s26
	v_mov_b32_e32 v21, s26
	v_pk_mov_b32 v[14:15], v[12:13], v[12:13] op_sel:[0,1]
	v_pk_mov_b32 v[2:3], v[0:1], v[0:1] op_sel:[0,1]
.LBB2_7:                                ; =>This Inner Loop Header: Depth=1
	v_add_co_u32_e32 v24, vcc, s20, v2
	v_addc_co_u32_e32 v25, vcc, v3, v17, vcc
	v_add_co_u32_e32 v22, vcc, s23, v4
	v_mul_lo_u32 v28, v25, s12
	v_mul_lo_u32 v29, v24, s13
	v_mad_u64_u32 v[24:25], s[26:27], v24, s12, 0
	v_addc_co_u32_e32 v23, vcc, v5, v18, vcc
	v_add3_u32 v25, v25, v29, v28
	v_mul_lo_u32 v26, v23, s24
	v_mul_lo_u32 v27, v22, s25
	v_mad_u64_u32 v[22:23], s[26:27], v22, s24, 0
	v_lshlrev_b64 v[24:25], 2, v[24:25]
	v_add3_u32 v23, v23, v27, v26
	v_add_co_u32_e32 v24, vcc, v7, v24
	v_lshlrev_b64 v[22:23], 2, v[22:23]
	v_addc_co_u32_e32 v25, vcc, v16, v25, vcc
	v_add_co_u32_e32 v22, vcc, v7, v22
	v_addc_co_u32_e32 v23, vcc, v16, v23, vcc
	global_load_dword v26, v[24:25], off
	global_load_dword v27, v[22:23], off
	v_lshl_add_u32 v23, v4, 8, v19
	v_add_co_u32_e32 v4, vcc, s22, v4
	v_addc_co_u32_e32 v5, vcc, v5, v20, vcc
	v_lshl_add_u32 v22, v2, 8, v19
	v_add_co_u32_e32 v2, vcc, s21, v2
	v_addc_co_u32_e32 v3, vcc, v3, v21, vcc
	v_add_co_u32_e32 v14, vcc, -2, v14
	v_addc_co_u32_e32 v15, vcc, -1, v15, vcc
	v_cmp_eq_u64_e32 vcc, 0, v[14:15]
	s_or_b64 s[16:17], vcc, s[16:17]
	s_waitcnt vmcnt(1)
	ds_write_b32 v22, v26
	s_waitcnt vmcnt(0)
	ds_write_b32 v23, v27
	s_andn2_b64 exec, exec, s[16:17]
	s_cbranch_execnz .LBB2_7
; %bb.8:
	s_or_b64 exec, exec, s[16:17]
	v_mad_u64_u32 v[2:3], s[16:17], v12, s18, v[0:1]
	v_mov_b32_e32 v4, v3
	v_mad_u64_u32 v[4:5], s[16:17], v13, s18, v[4:5]
	v_cmp_ne_u64_e32 vcc, v[10:11], v[12:13]
	v_mov_b32_e32 v3, v4
	s_orn2_b64 s[16:17], vcc, exec
.LBB2_9:
	s_or_b64 exec, exec, s[2:3]
	s_and_b64 exec, exec, s[16:17]
	s_cbranch_execz .LBB2_12
; %bb.10:
	v_lshlrev_b32_e32 v4, 2, v6
	v_lshl_add_u32 v7, v2, 8, v4
	v_add_co_u32_e32 v4, vcc, s20, v2
	v_addc_co_u32_e32 v5, vcc, 0, v3, vcc
	v_mul_lo_u32 v10, s13, v4
	v_mul_lo_u32 v11, s12, v5
	v_mad_u64_u32 v[4:5], s[2:3], s12, v4, 0
	v_add3_u32 v5, v5, v11, v10
	v_lshlrev_b64 v[4:5], 2, v[4:5]
	v_add_co_u32_e32 v4, vcc, v4, v8
	s_mul_i32 s2, s13, s18
	s_mul_hi_u32 s3, s12, s18
	v_addc_co_u32_e32 v5, vcc, v5, v9, vcc
	s_add_i32 s3, s3, s2
	s_mul_i32 s2, s12, s18
	v_mov_b32_e32 v8, s11
	v_add_co_u32_e32 v4, vcc, s10, v4
	s_lshl_b64 s[2:3], s[2:3], 2
	s_lshl_b32 s16, s18, 8
	v_addc_co_u32_e32 v5, vcc, v8, v5, vcc
	s_mov_b64 s[10:11], 0
	v_mov_b32_e32 v8, s19
	v_mov_b32_e32 v9, s3
.LBB2_11:                               ; =>This Inner Loop Header: Depth=1
	global_load_dword v10, v[4:5], off
	v_add_co_u32_e32 v2, vcc, s18, v2
	v_addc_co_u32_e32 v3, vcc, v3, v8, vcc
	v_add_co_u32_e32 v4, vcc, s2, v4
	v_addc_co_u32_e32 v5, vcc, v5, v9, vcc
	v_cmp_lt_u64_e32 vcc, 63, v[2:3]
	s_or_b64 s[10:11], vcc, s[10:11]
	s_waitcnt vmcnt(0)
	ds_write_b32 v7, v10
	v_add_u32_e32 v7, s16, v7
	s_andn2_b64 exec, exec, s[10:11]
	s_cbranch_execnz .LBB2_11
.LBB2_12:
	s_or_b64 exec, exec, s[14:15]
	v_lshlrev_b32_e32 v14, 2, v6
	s_waitcnt lgkmcnt(0)
	s_barrier
	s_and_saveexec_b64 s[2:3], s[0:1]
	s_cbranch_execz .LBB2_17
; %bb.13:
	s_load_dword s10, s[4:5], 0x24
	s_mov_b32 s14, 0
	v_lshlrev_b32_e32 v2, 2, v0
	v_mov_b32_e32 v7, 0
	v_lshl_add_u32 v4, v0, 8, v14
	s_waitcnt lgkmcnt(0)
	s_lshr_b32 s16, s10, 16
	s_lshl_b32 s17, s16, 8
	v_lshl_add_u32 v5, v6, 8, v2
	s_lshl_b32 s18, s16, 2
	s_mov_b64 s[10:11], 0
	v_mov_b32_e32 v8, s14
	v_pk_mov_b32 v[2:3], v[0:1], v[0:1] op_sel:[0,1]
	s_branch .LBB2_15
.LBB2_14:                               ;   in Loop: Header=BB2_15 Depth=1
	s_or_b64 exec, exec, s[14:15]
	v_add_co_u32_e32 v2, vcc, s16, v2
	v_addc_co_u32_e32 v3, vcc, v3, v8, vcc
	v_cmp_lt_u64_e32 vcc, 63, v[2:3]
	v_add_u32_e32 v4, s17, v4
	s_or_b64 s[10:11], vcc, s[10:11]
	v_add_u32_e32 v5, s18, v5
	s_andn2_b64 exec, exec, s[10:11]
	s_cbranch_execz .LBB2_17
.LBB2_15:                               ; =>This Inner Loop Header: Depth=1
	v_cmp_lt_u64_e32 vcc, v[2:3], v[6:7]
	s_and_saveexec_b64 s[14:15], vcc
	s_cbranch_execz .LBB2_14
; %bb.16:                               ;   in Loop: Header=BB2_15 Depth=1
	ds_read_b32 v9, v5
	ds_read_b32 v10, v4
	s_waitcnt lgkmcnt(1)
	ds_write_b32 v4, v9
	s_waitcnt lgkmcnt(1)
	ds_write_b32 v5, v10
	s_branch .LBB2_14
.LBB2_17:
	s_or_b64 exec, exec, s[2:3]
	s_waitcnt lgkmcnt(0)
	s_barrier
	s_and_saveexec_b64 s[2:3], s[0:1]
	s_cbranch_execz .LBB2_29
; %bb.18:
	s_load_dword s0, s[4:5], 0x24
	v_mov_b32_e32 v4, 0
	s_mov_b32 s5, 0
	s_waitcnt lgkmcnt(0)
	s_lshr_b32 s4, s0, 16
	v_add_co_u32_e32 v8, vcc, s4, v0
	v_addc_co_u32_e64 v9, s[0:1], 0, 0, vcc
	v_cmp_lt_u64_e32 vcc, 64, v[8:9]
	v_cndmask_b32_e32 v5, 0, v9, vcc
	v_cndmask_b32_e32 v3, 64, v8, vcc
	v_cmp_gt_u64_e32 vcc, 64, v[8:9]
	v_cndmask_b32_e64 v2, 0, 1, vcc
	v_add_co_u32_e32 v7, vcc, v8, v2
	v_addc_co_u32_e32 v8, vcc, 0, v9, vcc
	v_sub_co_u32_e32 v3, vcc, v3, v7
	v_subb_co_u32_e32 v5, vcc, v5, v8, vcc
	v_cmp_ne_u64_e32 vcc, 0, v[4:5]
                                        ; implicit-def: $vgpr8_vgpr9
	s_and_saveexec_b64 s[0:1], vcc
	s_xor_b64 s[2:3], exec, s[0:1]
	s_cbranch_execz .LBB2_20
; %bb.19:
	v_cvt_f32_u32_e32 v4, s4
	v_mov_b32_e32 v7, 0x4f800000
	s_sub_u32 s0, 0, s4
	s_subb_u32 s1, 0, 0
	v_mac_f32_e32 v4, 0, v7
	v_rcp_f32_e32 v4, v4
	v_mul_f32_e32 v4, 0x5f7ffffc, v4
	v_mul_f32_e32 v7, 0x2f800000, v4
	v_trunc_f32_e32 v7, v7
	v_madmk_f32 v4, v7, 0xcf800000, v4
	v_cvt_u32_f32_e32 v7, v7
	v_cvt_u32_f32_e32 v4, v4
	v_mul_lo_u32 v8, s0, v7
	v_mul_hi_u32 v10, s0, v4
	v_mul_lo_u32 v9, s1, v4
	v_add_u32_e32 v8, v10, v8
	v_mul_lo_u32 v11, s0, v4
	v_add_u32_e32 v8, v8, v9
	v_mul_hi_u32 v10, v4, v11
	v_mul_lo_u32 v12, v4, v8
	v_mul_hi_u32 v9, v4, v8
	v_add_co_u32_e32 v10, vcc, v10, v12
	v_addc_co_u32_e32 v9, vcc, 0, v9, vcc
	v_mul_hi_u32 v13, v7, v11
	v_mul_lo_u32 v11, v7, v11
	v_add_co_u32_e32 v10, vcc, v10, v11
	v_mul_hi_u32 v12, v7, v8
	v_addc_co_u32_e32 v9, vcc, v9, v13, vcc
	v_addc_co_u32_e32 v10, vcc, 0, v12, vcc
	v_mul_lo_u32 v8, v7, v8
	v_add_co_u32_e32 v8, vcc, v9, v8
	v_addc_co_u32_e32 v9, vcc, 0, v10, vcc
	v_add_co_u32_e32 v4, vcc, v4, v8
	v_addc_co_u32_e32 v7, vcc, v7, v9, vcc
	v_mul_lo_u32 v8, s0, v7
	v_mul_hi_u32 v9, s0, v4
	v_add_u32_e32 v8, v9, v8
	v_mul_lo_u32 v9, s1, v4
	v_add_u32_e32 v8, v8, v9
	v_mul_lo_u32 v10, s0, v4
	v_mul_hi_u32 v11, v7, v10
	v_mul_lo_u32 v12, v7, v10
	v_mul_lo_u32 v15, v4, v8
	v_mul_hi_u32 v10, v4, v10
	v_mul_hi_u32 v13, v4, v8
	v_add_co_u32_e32 v10, vcc, v10, v15
	v_addc_co_u32_e32 v13, vcc, 0, v13, vcc
	v_add_co_u32_e32 v10, vcc, v10, v12
	v_mul_hi_u32 v9, v7, v8
	v_addc_co_u32_e32 v10, vcc, v13, v11, vcc
	v_addc_co_u32_e32 v9, vcc, 0, v9, vcc
	v_mul_lo_u32 v8, v7, v8
	v_add_co_u32_e32 v8, vcc, v10, v8
	v_addc_co_u32_e32 v9, vcc, 0, v9, vcc
	v_add_co_u32_e32 v4, vcc, v4, v8
	v_addc_co_u32_e32 v7, vcc, v7, v9, vcc
	v_mad_u64_u32 v[8:9], s[0:1], v3, v7, 0
	v_mul_hi_u32 v10, v3, v4
	v_add_co_u32_e32 v12, vcc, v10, v8
	v_addc_co_u32_e32 v13, vcc, 0, v9, vcc
	v_mad_u64_u32 v[10:11], s[0:1], v5, v4, 0
	v_add_co_u32_e32 v4, vcc, v12, v10
	v_mad_u64_u32 v[8:9], s[0:1], v5, v7, 0
	v_addc_co_u32_e32 v4, vcc, v13, v11, vcc
	v_addc_co_u32_e32 v7, vcc, 0, v9, vcc
	v_add_co_u32_e32 v12, vcc, v4, v8
	v_mad_u64_u32 v[8:9], s[0:1], s4, v12, 0
	v_addc_co_u32_e32 v7, vcc, 0, v7, vcc
	v_mov_b32_e32 v4, v9
	v_mad_u64_u32 v[10:11], s[0:1], s4, v7, v[4:5]
	v_sub_co_u32_e32 v3, vcc, v3, v8
	v_subb_co_u32_e32 v4, vcc, v5, v10, vcc
	v_subrev_co_u32_e32 v5, vcc, s4, v3
	v_subbrev_co_u32_e32 v8, vcc, 0, v4, vcc
	v_cmp_le_u32_e32 vcc, s4, v5
	v_cndmask_b32_e64 v5, 0, -1, vcc
	v_cmp_eq_u32_e32 vcc, 0, v8
	v_cndmask_b32_e32 v5, -1, v5, vcc
	v_add_co_u32_e32 v8, vcc, 2, v12
	v_addc_co_u32_e32 v9, vcc, 0, v7, vcc
	v_add_co_u32_e32 v10, vcc, 1, v12
	v_cmp_le_u32_e64 s[0:1], s4, v3
	v_addc_co_u32_e32 v11, vcc, 0, v7, vcc
	v_cndmask_b32_e64 v3, 0, -1, s[0:1]
	v_cmp_eq_u32_e64 s[0:1], 0, v4
	v_cmp_ne_u32_e32 vcc, 0, v5
	v_cndmask_b32_e64 v3, -1, v3, s[0:1]
	v_cndmask_b32_e32 v5, v11, v9, vcc
	v_cmp_ne_u32_e64 s[0:1], 0, v3
	v_cndmask_b32_e32 v3, v10, v8, vcc
	v_cndmask_b32_e64 v9, v7, v5, s[0:1]
	v_cndmask_b32_e64 v8, v12, v3, s[0:1]
                                        ; implicit-def: $vgpr3
.LBB2_20:
	s_andn2_saveexec_b64 s[0:1], s[2:3]
	s_cbranch_execz .LBB2_22
; %bb.21:
	v_cvt_f32_u32_e32 v4, s4
	s_sub_i32 s2, 0, s4
	v_mov_b32_e32 v9, 0
	v_rcp_iflag_f32_e32 v4, v4
	v_mul_f32_e32 v4, 0x4f7ffffe, v4
	v_cvt_u32_f32_e32 v4, v4
	v_mul_lo_u32 v5, s2, v4
	v_mul_hi_u32 v5, v4, v5
	v_add_u32_e32 v4, v4, v5
	v_mul_hi_u32 v4, v3, v4
	v_mul_lo_u32 v5, v4, s4
	v_sub_u32_e32 v3, v3, v5
	v_add_u32_e32 v7, 1, v4
	v_subrev_u32_e32 v5, s4, v3
	v_cmp_le_u32_e32 vcc, s4, v3
	v_cndmask_b32_e32 v3, v3, v5, vcc
	v_cndmask_b32_e32 v4, v4, v7, vcc
	v_add_u32_e32 v5, 1, v4
	v_cmp_le_u32_e32 vcc, s4, v3
	v_cndmask_b32_e32 v8, v4, v5, vcc
.LBB2_22:
	s_or_b64 exec, exec, s[0:1]
	v_add_co_u32_e32 v2, vcc, v8, v2
	v_addc_co_u32_e32 v3, vcc, 0, v9, vcc
	v_add_co_u32_e32 v8, vcc, 1, v2
	v_lshl_add_u32 v4, s7, 6, v6
	v_mov_b32_e32 v5, 0
	v_addc_co_u32_e32 v9, vcc, 0, v3, vcc
	v_cmp_lt_u64_e32 vcc, 1, v[8:9]
	s_mov_b64 s[2:3], -1
	v_lshlrev_b64 v[6:7], 2, v[4:5]
	s_and_saveexec_b64 s[0:1], vcc
	s_cbranch_execz .LBB2_26
; %bb.23:
	v_mov_b32_e32 v2, s9
	v_add_co_u32_e32 v15, vcc, s8, v6
	v_addc_co_u32_e32 v16, vcc, v2, v7, vcc
	v_mov_b32_e32 v3, s5
	v_add_co_u32_e32 v2, vcc, s4, v0
	v_addc_co_u32_e32 v3, vcc, 0, v3, vcc
	v_and_b32_e32 v10, -2, v8
	v_mov_b32_e32 v11, v9
	s_lshl_b32 s7, s4, 1
	s_mov_b32 s16, 0
	v_pk_mov_b32 v[4:5], v[2:3], v[2:3] op_sel:[0,1]
	s_mov_b32 s10, s7
	s_mov_b32 s11, s6
	;; [unrolled: 1-line block ×4, first 2 shown]
	s_mov_b64 s[2:3], 0
	v_mov_b32_e32 v17, s16
	v_mov_b32_e32 v18, s16
	;; [unrolled: 1-line block ×4, first 2 shown]
	v_pk_mov_b32 v[12:13], v[10:11], v[10:11] op_sel:[0,1]
	v_pk_mov_b32 v[2:3], v[0:1], v[0:1] op_sel:[0,1]
.LBB2_24:                               ; =>This Inner Loop Header: Depth=1
	v_add_co_u32_e32 v24, vcc, s6, v2
	v_addc_co_u32_e32 v25, vcc, v3, v17, vcc
	v_add_co_u32_e32 v23, vcc, s11, v4
	v_addc_co_u32_e32 v26, vcc, v5, v18, vcc
	v_lshl_add_u32 v22, v4, 8, v14
	v_add_co_u32_e32 v4, vcc, s10, v4
	v_addc_co_u32_e32 v5, vcc, v5, v19, vcc
	v_lshl_add_u32 v21, v2, 8, v14
	v_add_co_u32_e32 v2, vcc, s7, v2
	v_addc_co_u32_e32 v3, vcc, v3, v20, vcc
	v_add_co_u32_e32 v12, vcc, -2, v12
	v_mul_lo_u32 v29, v25, s12
	v_mul_lo_u32 v30, v24, s13
	v_mad_u64_u32 v[24:25], s[16:17], v24, s12, 0
	v_addc_co_u32_e32 v13, vcc, -1, v13, vcc
	ds_read_b32 v21, v21
	ds_read_b32 v27, v22
	v_add3_u32 v25, v25, v30, v29
	v_mul_lo_u32 v26, v26, s14
	v_mul_lo_u32 v28, v23, s15
	v_mad_u64_u32 v[22:23], s[16:17], v23, s14, 0
	v_cmp_eq_u64_e32 vcc, 0, v[12:13]
	v_lshlrev_b64 v[24:25], 2, v[24:25]
	v_add3_u32 v23, v23, v28, v26
	s_or_b64 s[2:3], vcc, s[2:3]
	v_add_co_u32_e32 v24, vcc, v15, v24
	v_lshlrev_b64 v[22:23], 2, v[22:23]
	v_addc_co_u32_e32 v25, vcc, v16, v25, vcc
	v_add_co_u32_e32 v22, vcc, v15, v22
	v_addc_co_u32_e32 v23, vcc, v16, v23, vcc
	s_waitcnt lgkmcnt(1)
	global_store_dword v[24:25], v21, off
	s_waitcnt lgkmcnt(0)
	global_store_dword v[22:23], v27, off
	s_andn2_b64 exec, exec, s[2:3]
	s_cbranch_execnz .LBB2_24
; %bb.25:
	s_or_b64 exec, exec, s[2:3]
	v_mad_u64_u32 v[0:1], s[2:3], v10, s4, v[0:1]
	v_mov_b32_e32 v2, v1
	v_mad_u64_u32 v[2:3], s[2:3], v11, s4, v[2:3]
	v_cmp_ne_u64_e32 vcc, v[8:9], v[10:11]
	v_mov_b32_e32 v1, v2
	s_orn2_b64 s[2:3], vcc, exec
.LBB2_26:
	s_or_b64 exec, exec, s[0:1]
	s_and_b64 exec, exec, s[2:3]
	s_cbranch_execz .LBB2_29
; %bb.27:
	v_add_co_u32_e32 v2, vcc, s6, v0
	v_addc_co_u32_e32 v3, vcc, 0, v1, vcc
	v_mul_lo_u32 v5, s13, v2
	v_mul_lo_u32 v8, s12, v3
	v_mad_u64_u32 v[2:3], s[0:1], s12, v2, 0
	v_add3_u32 v3, v3, v8, v5
	v_lshlrev_b64 v[2:3], 2, v[2:3]
	v_add_co_u32_e32 v2, vcc, v2, v6
	s_mul_i32 s0, s13, s4
	s_mul_hi_u32 s1, s12, s4
	v_addc_co_u32_e32 v3, vcc, v3, v7, vcc
	s_add_i32 s1, s1, s0
	s_mul_i32 s0, s12, s4
	v_mov_b32_e32 v5, s9
	v_add_co_u32_e32 v2, vcc, s8, v2
	s_lshl_b64 s[0:1], s[0:1], 2
	v_lshl_add_u32 v4, v0, 8, v14
	s_lshl_b32 s7, s4, 8
	v_addc_co_u32_e32 v3, vcc, v5, v3, vcc
	s_mov_b64 s[2:3], 0
	v_mov_b32_e32 v5, s5
	v_mov_b32_e32 v6, s1
.LBB2_28:                               ; =>This Inner Loop Header: Depth=1
	ds_read_b32 v7, v4
	v_add_co_u32_e32 v0, vcc, s4, v0
	v_addc_co_u32_e32 v1, vcc, v1, v5, vcc
	v_cmp_lt_u64_e32 vcc, 63, v[0:1]
	s_or_b64 s[2:3], vcc, s[2:3]
	s_waitcnt lgkmcnt(0)
	global_store_dword v[2:3], v7, off
	v_add_co_u32_e32 v2, vcc, s0, v2
	v_add_u32_e32 v4, s7, v4
	v_addc_co_u32_e32 v3, vcc, v3, v6, vcc
	s_andn2_b64 exec, exec, s[2:3]
	s_cbranch_execnz .LBB2_28
.LBB2_29:
	s_endpgm
	.section	.rodata,"a",@progbits
	.p2align	6, 0x0
	.amdhsa_kernel _Z23transposeLdsSwapInplaceIiEvPT_PKS0_m
		.amdhsa_group_segment_fixed_size 16384
		.amdhsa_private_segment_fixed_size 0
		.amdhsa_kernarg_size 280
		.amdhsa_user_sgpr_count 6
		.amdhsa_user_sgpr_private_segment_buffer 1
		.amdhsa_user_sgpr_dispatch_ptr 0
		.amdhsa_user_sgpr_queue_ptr 0
		.amdhsa_user_sgpr_kernarg_segment_ptr 1
		.amdhsa_user_sgpr_dispatch_id 0
		.amdhsa_user_sgpr_flat_scratch_init 0
		.amdhsa_user_sgpr_kernarg_preload_length 0
		.amdhsa_user_sgpr_kernarg_preload_offset 0
		.amdhsa_user_sgpr_private_segment_size 0
		.amdhsa_uses_dynamic_stack 0
		.amdhsa_system_sgpr_private_segment_wavefront_offset 0
		.amdhsa_system_sgpr_workgroup_id_x 1
		.amdhsa_system_sgpr_workgroup_id_y 1
		.amdhsa_system_sgpr_workgroup_id_z 0
		.amdhsa_system_sgpr_workgroup_info 0
		.amdhsa_system_vgpr_workitem_id 1
		.amdhsa_next_free_vgpr 31
		.amdhsa_next_free_sgpr 28
		.amdhsa_accum_offset 32
		.amdhsa_reserve_vcc 1
		.amdhsa_reserve_flat_scratch 0
		.amdhsa_float_round_mode_32 0
		.amdhsa_float_round_mode_16_64 0
		.amdhsa_float_denorm_mode_32 3
		.amdhsa_float_denorm_mode_16_64 3
		.amdhsa_dx10_clamp 1
		.amdhsa_ieee_mode 1
		.amdhsa_fp16_overflow 0
		.amdhsa_tg_split 0
		.amdhsa_exception_fp_ieee_invalid_op 0
		.amdhsa_exception_fp_denorm_src 0
		.amdhsa_exception_fp_ieee_div_zero 0
		.amdhsa_exception_fp_ieee_overflow 0
		.amdhsa_exception_fp_ieee_underflow 0
		.amdhsa_exception_fp_ieee_inexact 0
		.amdhsa_exception_int_div_zero 0
	.end_amdhsa_kernel
	.section	.text._Z23transposeLdsSwapInplaceIiEvPT_PKS0_m,"axG",@progbits,_Z23transposeLdsSwapInplaceIiEvPT_PKS0_m,comdat
.Lfunc_end2:
	.size	_Z23transposeLdsSwapInplaceIiEvPT_PKS0_m, .Lfunc_end2-_Z23transposeLdsSwapInplaceIiEvPT_PKS0_m
                                        ; -- End function
	.section	.AMDGPU.csdata,"",@progbits
; Kernel info:
; codeLenInByte = 2908
; NumSgprs: 32
; NumVgprs: 31
; NumAgprs: 0
; TotalNumVgprs: 31
; ScratchSize: 0
; MemoryBound: 0
; FloatMode: 240
; IeeeMode: 1
; LDSByteSize: 16384 bytes/workgroup (compile time only)
; SGPRBlocks: 3
; VGPRBlocks: 3
; NumSGPRsForWavesPerEU: 32
; NumVGPRsForWavesPerEU: 31
; AccumOffset: 32
; Occupancy: 8
; WaveLimiterHint : 0
; COMPUTE_PGM_RSRC2:SCRATCH_EN: 0
; COMPUTE_PGM_RSRC2:USER_SGPR: 6
; COMPUTE_PGM_RSRC2:TRAP_HANDLER: 0
; COMPUTE_PGM_RSRC2:TGID_X_EN: 1
; COMPUTE_PGM_RSRC2:TGID_Y_EN: 1
; COMPUTE_PGM_RSRC2:TGID_Z_EN: 0
; COMPUTE_PGM_RSRC2:TIDIG_COMP_CNT: 1
; COMPUTE_PGM_RSRC3_GFX90A:ACCUM_OFFSET: 7
; COMPUTE_PGM_RSRC3_GFX90A:TG_SPLIT: 0
	.section	.text._Z14transposeNaiveIfEvPT_PKS0_m,"axG",@progbits,_Z14transposeNaiveIfEvPT_PKS0_m,comdat
	.protected	_Z14transposeNaiveIfEvPT_PKS0_m ; -- Begin function _Z14transposeNaiveIfEvPT_PKS0_m
	.globl	_Z14transposeNaiveIfEvPT_PKS0_m
	.p2align	8
	.type	_Z14transposeNaiveIfEvPT_PKS0_m,@function
_Z14transposeNaiveIfEvPT_PKS0_m:        ; @_Z14transposeNaiveIfEvPT_PKS0_m
; %bb.0:
	v_bfe_u32 v2, v0, 10, 10
	v_cmp_gt_u32_e32 vcc, 64, v2
	s_and_saveexec_b64 s[0:1], vcc
	s_cbranch_execz .LBB3_3
; %bb.1:
	s_load_dwordx4 s[0:3], s[4:5], 0x0
	s_load_dwordx2 s[8:9], s[4:5], 0x10
	s_load_dword s12, s[4:5], 0x24
	v_and_b32_e32 v0, 0x3ff, v0
	v_lshl_add_u32 v4, s6, 6, v0
	s_lshl_b32 s10, s7, 6
	s_waitcnt lgkmcnt(0)
	v_mad_u64_u32 v[0:1], s[6:7], s8, v4, 0
	v_mov_b32_e32 v6, v1
	v_mad_u64_u32 v[6:7], s[6:7], s9, v4, v[6:7]
	s_mov_b32 s11, 0
	v_mov_b32_e32 v1, v6
	s_lshr_b32 s4, s12, 16
	v_lshlrev_b64 v[0:1], 2, v[0:1]
	v_lshlrev_b32_e32 v6, 2, v2
	s_lshl_b64 s[6:7], s[10:11], 2
	v_add_co_u32_e32 v0, vcc, v0, v6
	s_add_u32 s0, s0, s6
	v_addc_co_u32_e32 v1, vcc, 0, v1, vcc
	s_addc_u32 s1, s1, s7
	v_mov_b32_e32 v6, s1
	v_add_co_u32_e32 v0, vcc, s0, v0
	v_addc_co_u32_e32 v1, vcc, v6, v1, vcc
	v_add_co_u32_e32 v6, vcc, s10, v2
	v_addc_co_u32_e64 v7, s[0:1], 0, 0, vcc
	v_mul_lo_u32 v8, s9, v6
	v_mul_lo_u32 v9, s8, v7
	v_mad_u64_u32 v[6:7], s[0:1], s8, v6, 0
	v_mov_b32_e32 v5, 0
	v_add3_u32 v7, v7, v9, v8
	v_mov_b32_e32 v3, v5
	v_lshlrev_b64 v[6:7], 2, v[6:7]
	v_lshlrev_b64 v[4:5], 2, v[4:5]
	v_add_co_u32_e32 v4, vcc, v6, v4
	s_mul_i32 s0, s9, s4
	s_mul_hi_u32 s1, s8, s4
	v_addc_co_u32_e32 v5, vcc, v7, v5, vcc
	s_add_i32 s1, s1, s0
	s_mul_i32 s0, s8, s4
	v_mov_b32_e32 v6, s3
	v_add_co_u32_e32 v4, vcc, s2, v4
	s_lshl_b64 s[0:1], s[0:1], 2
	s_lshl_b32 s5, s4, 2
	v_addc_co_u32_e32 v5, vcc, v6, v5, vcc
	s_mov_b64 s[2:3], 0
	v_mov_b32_e32 v6, s11
	v_mov_b32_e32 v7, s11
	;; [unrolled: 1-line block ×3, first 2 shown]
.LBB3_2:                                ; =>This Inner Loop Header: Depth=1
	global_load_dword v9, v[4:5], off
	v_add_co_u32_e32 v2, vcc, s4, v2
	v_addc_co_u32_e32 v3, vcc, v3, v6, vcc
	v_add_co_u32_e32 v4, vcc, s0, v4
	v_addc_co_u32_e32 v5, vcc, v5, v8, vcc
	v_cmp_lt_u64_e32 vcc, 63, v[2:3]
	s_or_b64 s[2:3], vcc, s[2:3]
	s_waitcnt vmcnt(0)
	global_store_dword v[0:1], v9, off
	v_add_co_u32_e32 v0, vcc, s5, v0
	v_addc_co_u32_e32 v1, vcc, v1, v7, vcc
	s_andn2_b64 exec, exec, s[2:3]
	s_cbranch_execnz .LBB3_2
.LBB3_3:
	s_endpgm
	.section	.rodata,"a",@progbits
	.p2align	6, 0x0
	.amdhsa_kernel _Z14transposeNaiveIfEvPT_PKS0_m
		.amdhsa_group_segment_fixed_size 0
		.amdhsa_private_segment_fixed_size 0
		.amdhsa_kernarg_size 280
		.amdhsa_user_sgpr_count 6
		.amdhsa_user_sgpr_private_segment_buffer 1
		.amdhsa_user_sgpr_dispatch_ptr 0
		.amdhsa_user_sgpr_queue_ptr 0
		.amdhsa_user_sgpr_kernarg_segment_ptr 1
		.amdhsa_user_sgpr_dispatch_id 0
		.amdhsa_user_sgpr_flat_scratch_init 0
		.amdhsa_user_sgpr_kernarg_preload_length 0
		.amdhsa_user_sgpr_kernarg_preload_offset 0
		.amdhsa_user_sgpr_private_segment_size 0
		.amdhsa_uses_dynamic_stack 0
		.amdhsa_system_sgpr_private_segment_wavefront_offset 0
		.amdhsa_system_sgpr_workgroup_id_x 1
		.amdhsa_system_sgpr_workgroup_id_y 1
		.amdhsa_system_sgpr_workgroup_id_z 0
		.amdhsa_system_sgpr_workgroup_info 0
		.amdhsa_system_vgpr_workitem_id 1
		.amdhsa_next_free_vgpr 10
		.amdhsa_next_free_sgpr 13
		.amdhsa_accum_offset 12
		.amdhsa_reserve_vcc 1
		.amdhsa_reserve_flat_scratch 0
		.amdhsa_float_round_mode_32 0
		.amdhsa_float_round_mode_16_64 0
		.amdhsa_float_denorm_mode_32 3
		.amdhsa_float_denorm_mode_16_64 3
		.amdhsa_dx10_clamp 1
		.amdhsa_ieee_mode 1
		.amdhsa_fp16_overflow 0
		.amdhsa_tg_split 0
		.amdhsa_exception_fp_ieee_invalid_op 0
		.amdhsa_exception_fp_denorm_src 0
		.amdhsa_exception_fp_ieee_div_zero 0
		.amdhsa_exception_fp_ieee_overflow 0
		.amdhsa_exception_fp_ieee_underflow 0
		.amdhsa_exception_fp_ieee_inexact 0
		.amdhsa_exception_int_div_zero 0
	.end_amdhsa_kernel
	.section	.text._Z14transposeNaiveIfEvPT_PKS0_m,"axG",@progbits,_Z14transposeNaiveIfEvPT_PKS0_m,comdat
.Lfunc_end3:
	.size	_Z14transposeNaiveIfEvPT_PKS0_m, .Lfunc_end3-_Z14transposeNaiveIfEvPT_PKS0_m
                                        ; -- End function
	.section	.AMDGPU.csdata,"",@progbits
; Kernel info:
; codeLenInByte = 336
; NumSgprs: 17
; NumVgprs: 10
; NumAgprs: 0
; TotalNumVgprs: 10
; ScratchSize: 0
; MemoryBound: 0
; FloatMode: 240
; IeeeMode: 1
; LDSByteSize: 0 bytes/workgroup (compile time only)
; SGPRBlocks: 2
; VGPRBlocks: 1
; NumSGPRsForWavesPerEU: 17
; NumVGPRsForWavesPerEU: 10
; AccumOffset: 12
; Occupancy: 8
; WaveLimiterHint : 0
; COMPUTE_PGM_RSRC2:SCRATCH_EN: 0
; COMPUTE_PGM_RSRC2:USER_SGPR: 6
; COMPUTE_PGM_RSRC2:TRAP_HANDLER: 0
; COMPUTE_PGM_RSRC2:TGID_X_EN: 1
; COMPUTE_PGM_RSRC2:TGID_Y_EN: 1
; COMPUTE_PGM_RSRC2:TGID_Z_EN: 0
; COMPUTE_PGM_RSRC2:TIDIG_COMP_CNT: 1
; COMPUTE_PGM_RSRC3_GFX90A:ACCUM_OFFSET: 2
; COMPUTE_PGM_RSRC3_GFX90A:TG_SPLIT: 0
	.section	.text._Z27transposeLdsNoBankConflictsIfEvPT_PKS0_m,"axG",@progbits,_Z27transposeLdsNoBankConflictsIfEvPT_PKS0_m,comdat
	.protected	_Z27transposeLdsNoBankConflictsIfEvPT_PKS0_m ; -- Begin function _Z27transposeLdsNoBankConflictsIfEvPT_PKS0_m
	.globl	_Z27transposeLdsNoBankConflictsIfEvPT_PKS0_m
	.p2align	8
	.type	_Z27transposeLdsNoBankConflictsIfEvPT_PKS0_m,@function
_Z27transposeLdsNoBankConflictsIfEvPT_PKS0_m: ; @_Z27transposeLdsNoBankConflictsIfEvPT_PKS0_m
; %bb.0:
	s_load_dword s0, s[4:5], 0x24
	s_mov_b32 s3, 0
	s_waitcnt lgkmcnt(0)
	s_lshr_b32 s2, s0, 16
	s_cmp_gt_u32 s2, 64
	s_cselect_b32 s1, s2, 64
	s_cselect_b32 s0, 0, 0
	s_add_u32 s16, s1, -1
	s_addc_u32 s17, s0, -1
	s_mov_b32 s0, s3
	s_mov_b32 s1, s17
	s_cmp_lg_u64 s[0:1], 0
	s_mov_b64 s[0:1], -1
	s_cbranch_scc0 .LBB4_9
; %bb.1:
	v_cvt_f32_u32_e32 v1, s2
	v_mov_b32_e32 v2, 0x4f800000
	s_sub_u32 s8, 0, s2
	s_subb_u32 s9, 0, 0
	v_mac_f32_e32 v1, 0, v2
	v_rcp_f32_e32 v1, v1
	v_mul_f32_e32 v1, 0x5f7ffffc, v1
	v_mul_f32_e32 v2, 0x2f800000, v1
	v_trunc_f32_e32 v2, v2
	v_madmk_f32 v1, v2, 0xcf800000, v1
	v_cvt_u32_f32_e32 v2, v2
	v_cvt_u32_f32_e32 v1, v1
	v_readfirstlane_b32 s10, v2
	v_readfirstlane_b32 s11, v1
	s_mul_i32 s12, s8, s10
	s_mul_hi_u32 s14, s8, s11
	s_mul_i32 s13, s9, s11
	s_add_i32 s12, s14, s12
	s_add_i32 s12, s12, s13
	s_mul_i32 s15, s8, s11
	s_mul_hi_u32 s13, s11, s12
	s_mul_i32 s14, s11, s12
	s_mul_hi_u32 s11, s11, s15
	s_add_u32 s11, s11, s14
	s_addc_u32 s13, 0, s13
	s_mul_hi_u32 s18, s10, s15
	s_mul_i32 s15, s10, s15
	s_add_u32 s11, s11, s15
	s_mul_hi_u32 s14, s10, s12
	s_addc_u32 s11, s13, s18
	s_addc_u32 s13, s14, 0
	s_mul_i32 s12, s10, s12
	s_add_u32 s11, s11, s12
	s_addc_u32 s12, 0, s13
	v_add_co_u32_e32 v1, vcc, s11, v1
	s_cmp_lg_u64 vcc, 0
	s_addc_u32 s10, s10, s12
	v_readfirstlane_b32 s12, v1
	s_mul_i32 s11, s8, s10
	s_mul_hi_u32 s13, s8, s12
	s_add_i32 s11, s13, s11
	s_mul_i32 s9, s9, s12
	s_add_i32 s11, s11, s9
	s_mul_i32 s8, s8, s12
	s_mul_hi_u32 s13, s10, s8
	s_mul_i32 s14, s10, s8
	s_mul_i32 s18, s12, s11
	s_mul_hi_u32 s8, s12, s8
	s_mul_hi_u32 s15, s12, s11
	s_add_u32 s8, s8, s18
	s_addc_u32 s12, 0, s15
	s_add_u32 s8, s8, s14
	s_mul_hi_u32 s9, s10, s11
	s_addc_u32 s8, s12, s13
	s_addc_u32 s9, s9, 0
	s_mul_i32 s11, s10, s11
	s_add_u32 s8, s8, s11
	s_addc_u32 s9, 0, s9
	v_add_co_u32_e32 v1, vcc, s8, v1
	s_cmp_lg_u64 vcc, 0
	s_addc_u32 s8, s10, s9
	v_readfirstlane_b32 s11, v1
	s_mul_i32 s10, s16, s8
	s_mul_hi_u32 s12, s16, s11
	s_mul_hi_u32 s9, s16, s8
	s_add_u32 s10, s12, s10
	s_addc_u32 s9, 0, s9
	s_mul_hi_u32 s13, s17, s11
	s_mul_i32 s11, s17, s11
	s_add_u32 s10, s10, s11
	s_mul_hi_u32 s12, s17, s8
	s_addc_u32 s9, s9, s13
	s_addc_u32 s10, s12, 0
	s_mul_i32 s8, s17, s8
	s_add_u32 s8, s9, s8
	s_addc_u32 s9, 0, s10
	s_add_u32 s10, s8, 1
	s_addc_u32 s11, s9, 0
	s_add_u32 s12, s8, 2
	s_mul_i32 s14, s2, s9
	s_mul_hi_u32 s15, s2, s8
	s_addc_u32 s13, s9, 0
	s_add_i32 s15, s15, s14
	s_mul_i32 s14, s2, s8
	v_mov_b32_e32 v1, s14
	v_sub_co_u32_e32 v1, vcc, s16, v1
	s_cmp_lg_u64 vcc, 0
	s_subb_u32 s14, s17, s15
	v_subrev_co_u32_e32 v2, vcc, s2, v1
	s_cmp_lg_u64 vcc, 0
	s_subb_u32 s15, s14, 0
	v_readfirstlane_b32 s18, v2
	s_cmp_ge_u32 s18, s2
	s_cselect_b32 s18, -1, 0
	s_cmp_eq_u32 s15, 0
	s_cselect_b32 s15, s18, -1
	s_cmp_lg_u32 s15, 0
	s_cselect_b32 s10, s12, s10
	v_readfirstlane_b32 s12, v1
	s_cselect_b32 s11, s13, s11
	s_cmp_ge_u32 s12, s2
	s_cselect_b32 s12, -1, 0
	s_cmp_eq_u32 s14, 0
	s_cselect_b32 s12, s12, -1
	s_cmp_lg_u32 s12, 0
	s_cselect_b32 s15, s11, s9
	s_cselect_b32 s14, s10, s8
	s_cbranch_execnz .LBB4_3
.LBB4_2:
	v_cvt_f32_u32_e32 v1, s2
	s_sub_i32 s0, 0, s2
	s_mov_b32 s15, 0
	v_rcp_iflag_f32_e32 v1, v1
	v_mul_f32_e32 v1, 0x4f7ffffe, v1
	v_cvt_u32_f32_e32 v1, v1
	v_readfirstlane_b32 s1, v1
	s_mul_i32 s0, s0, s1
	s_mul_hi_u32 s0, s1, s0
	s_add_i32 s1, s1, s0
	s_mul_hi_u32 s0, s16, s1
	s_mul_i32 s8, s0, s2
	s_sub_i32 s8, s16, s8
	s_add_i32 s1, s0, 1
	s_sub_i32 s9, s8, s2
	s_cmp_ge_u32 s8, s2
	s_cselect_b32 s0, s1, s0
	s_cselect_b32 s8, s9, s8
	s_add_i32 s1, s0, 1
	s_cmp_ge_u32 s8, s2
	s_cselect_b32 s14, s1, s0
.LBB4_3:
	s_load_dwordx4 s[8:11], s[4:5], 0x0
	s_load_dwordx2 s[12:13], s[4:5], 0x10
	s_lshl_b32 s23, s6, 6
	v_and_b32_e32 v7, 0x3ff, v0
	s_lshl_b32 s24, s7, 6
	v_pk_mov_b32 v[8:9], s[2:3], s[2:3] op_sel:[0,1]
	v_add_u32_e32 v4, s23, v7
	v_mov_b32_e32 v5, 0
	v_bfe_u32 v0, v0, 10, 10
	s_add_u32 s14, s14, 1
	v_cmp_ge_u64_e32 vcc, s[16:17], v[8:9]
	s_mov_b32 s0, 0
	v_add_u32_e32 v2, s24, v0
	v_mov_b32_e32 v3, v5
	s_addc_u32 s15, s15, 0
	v_lshlrev_b64 v[4:5], 2, v[4:5]
	s_cbranch_vccz .LBB4_8
; %bb.4:
	s_waitcnt lgkmcnt(0)
	v_mad_u64_u32 v[8:9], s[4:5], v2, s12, 0
	v_mov_b32_e32 v6, v9
	v_mad_u64_u32 v[10:11], s[4:5], v2, s13, v[6:7]
	v_mov_b32_e32 v9, v10
	v_lshlrev_b64 v[8:9], 2, v[8:9]
	v_mov_b32_e32 v1, s11
	v_add_co_u32_e32 v6, vcc, s10, v8
	v_addc_co_u32_e32 v1, vcc, v1, v9, vcc
	v_add_co_u32_e32 v8, vcc, v6, v4
	s_and_b32 s18, s14, -2
	s_mov_b32 s19, s15
	s_mov_b32 s1, s0
	s_lshl_b32 s22, s2, 1
	s_mov_b64 s[6:7], s[2:3]
	v_addc_co_u32_e32 v9, vcc, v1, v5, vcc
	s_mov_b32 s25, s22
	s_mov_b32 s26, s12
	;; [unrolled: 1-line block ×3, first 2 shown]
	v_mov_b32_e32 v1, v0
	v_lshlrev_b32_e32 v6, 2, v7
	s_movk_i32 s28, 0x104
	s_mov_b64 s[20:21], s[18:19]
	s_mov_b64 s[4:5], s[0:1]
.LBB4_5:                                ; =>This Inner Loop Header: Depth=1
	s_mul_i32 s1, s6, s27
	s_mul_hi_u32 s29, s6, s26
	s_mul_i32 s33, s4, s13
	s_mul_hi_u32 s34, s4, s12
	s_mul_i32 s31, s7, s26
	s_mul_i32 s35, s5, s12
	s_add_i32 s1, s29, s1
	s_add_i32 s29, s34, s33
	s_mul_i32 s0, s6, s26
	s_mul_i32 s30, s4, s12
	s_add_i32 s1, s1, s31
	s_add_i32 s31, s29, s35
	s_lshl_b64 s[30:31], s[30:31], 2
	s_lshl_b64 s[0:1], s[0:1], 2
	v_mov_b32_e32 v11, s31
	v_mov_b32_e32 v14, s1
	v_add_co_u32_e32 v10, vcc, s0, v8
	v_add_co_u32_e64 v12, s[0:1], s30, v8
	v_addc_co_u32_e64 v13, s[0:1], v9, v11, s[0:1]
	v_addc_co_u32_e32 v11, vcc, v9, v14, vcc
	global_load_dword v14, v[12:13], off
	global_load_dword v15, v[10:11], off
	v_add_u32_e32 v12, s6, v1
	s_add_u32 s6, s6, s25
	s_addc_u32 s7, s7, 0
	v_add_u32_e32 v10, s4, v0
	s_add_u32 s4, s4, s22
	s_addc_u32 s5, s5, 0
	s_add_u32 s20, s20, -2
	s_addc_u32 s21, s21, -1
	v_mad_u64_u32 v[10:11], s[0:1], v10, s28, v[6:7]
	s_cmp_lg_u64 s[20:21], 0
	v_mad_u64_u32 v[12:13], s[0:1], v12, s28, v[6:7]
	s_waitcnt vmcnt(1)
	ds_write_b32 v10, v14
	s_waitcnt vmcnt(0)
	ds_write_b32 v12, v15
	s_cbranch_scc1 .LBB4_5
; %bb.6:
	s_mul_i32 s0, s19, s2
	s_mul_hi_u32 s1, s18, s2
	s_add_i32 s1, s1, s0
	s_cmp_lg_u64 s[14:15], s[18:19]
	s_mul_i32 s0, s18, s2
	s_cbranch_scc1 .LBB4_10
; %bb.7:
	s_mov_b64 s[4:5], 0
	s_mov_b32 s20, s2
	s_branch .LBB4_12
.LBB4_8:
	s_mov_b64 s[4:5], -1
	s_mov_b64 s[0:1], 0
	s_branch .LBB4_11
.LBB4_9:
                                        ; implicit-def: $sgpr14_sgpr15
	s_andn2_b64 vcc, exec, s[0:1]
	s_cbranch_vccz .LBB4_2
	s_branch .LBB4_3
.LBB4_10:
	s_mov_b64 s[4:5], -1
.LBB4_11:
                                        ; implicit-def: $sgpr20
.LBB4_12:
	s_and_b64 vcc, exec, s[4:5]
	s_waitcnt lgkmcnt(0)
	s_mul_i32 s21, s13, s2
	s_mul_hi_u32 s22, s12, s2
	s_mul_i32 s18, s12, s2
	s_cbranch_vccz .LBB4_15
; %bb.13:
	s_lshl_b64 s[4:5], s[0:1], 2
	v_lshlrev_b64 v[2:3], 2, v[2:3]
	v_mov_b32_e32 v1, s5
	v_add_co_u32_e32 v2, vcc, s4, v2
	v_addc_co_u32_e32 v1, vcc, v1, v3, vcc
	v_mul_lo_u32 v1, s12, v1
	v_mul_lo_u32 v6, s13, v2
	v_mad_u64_u32 v[2:3], s[4:5], s12, v2, v[4:5]
	v_add3_u32 v1, v6, v3, v1
	v_mov_b32_e32 v3, s11
	v_add_co_u32_e32 v2, vcc, s10, v2
	v_addc_co_u32_e32 v3, vcc, v3, v1, vcc
	s_add_i32 s19, s22, s21
	v_add_u32_e32 v1, s0, v0
	s_movk_i32 s6, 0x104
	s_and_b32 s20, 0xffff, s2
	s_lshl_b64 s[4:5], s[18:19], 2
	v_mul_lo_u32 v1, v1, s6
	v_lshl_add_u32 v1, v7, 2, v1
	s_mul_i32 s6, s20, 0x104
	v_mov_b32_e32 v4, s5
.LBB4_14:                               ; =>This Inner Loop Header: Depth=1
	global_load_dword v5, v[2:3], off
	s_add_u32 s0, s0, s2
	v_add_co_u32_e32 v2, vcc, s4, v2
	s_addc_u32 s1, s1, 0
	v_addc_co_u32_e32 v3, vcc, v3, v4, vcc
	v_cmp_gt_u64_e64 s[10:11], s[0:1], 63
	s_and_b64 vcc, exec, s[10:11]
	s_waitcnt vmcnt(0)
	ds_write_b32 v1, v5
	v_add_u32_e32 v1, s6, v1
	s_cbranch_vccz .LBB4_14
.LBB4_15:
	v_pk_mov_b32 v[8:9], s[2:3], s[2:3] op_sel:[0,1]
	s_cmp_eq_u32 s20, 1
	v_cmp_ge_u64_e32 vcc, s[16:17], v[8:9]
	s_cselect_b64 s[0:1], -1, 0
	s_and_b64 s[0:1], vcc, s[0:1]
	v_add_u32_e32 v4, s24, v7
	v_add_u32_e32 v2, s23, v0
	v_mov_b32_e32 v3, 0
	s_and_b64 vcc, exec, s[0:1]
	s_waitcnt lgkmcnt(0)
	s_barrier
	s_cbranch_vccnz .LBB4_17
; %bb.16:
	v_mul_u32_u24_e32 v1, 0x104, v7
	s_mov_b64 s[0:1], -1
	s_mov_b64 s[4:5], 0
	v_mov_b32_e32 v5, v3
	v_lshlrev_b64 v[4:5], 2, v[4:5]
	s_cbranch_execz .LBB4_18
	s_branch .LBB4_21
.LBB4_17:
	s_mov_b64 s[0:1], 0
                                        ; implicit-def: $sgpr4_sgpr5
                                        ; implicit-def: $vgpr1
	v_mov_b32_e32 v5, v3
	v_lshlrev_b64 v[4:5], 2, v[4:5]
.LBB4_18:
	v_mad_u64_u32 v[8:9], s[0:1], v2, s12, 0
	v_mov_b32_e32 v6, v9
	v_mad_u64_u32 v[10:11], s[0:1], v2, s13, v[6:7]
	v_mov_b32_e32 v9, v10
	v_lshlrev_b64 v[8:9], 2, v[8:9]
	v_mov_b32_e32 v1, s9
	v_add_co_u32_e32 v6, vcc, s8, v8
	v_addc_co_u32_e32 v1, vcc, v1, v9, vcc
	v_add_co_u32_e32 v6, vcc, v6, v4
	s_mov_b32 s0, 0
	s_movk_i32 s4, 0x104
	v_lshlrev_b32_e32 v9, 2, v0
	v_addc_co_u32_e32 v8, vcc, v1, v5, vcc
	s_and_b32 s10, s14, -2
	s_mov_b32 s11, s15
	s_mov_b32 s1, s0
	v_mul_u32_u24_e32 v1, 0x104, v7
	v_mad_u32_u24 v7, v7, s4, v9
	s_mov_b64 s[6:7], s[2:3]
	s_mov_b32 s19, s12
	s_mov_b32 s23, s13
	s_mov_b64 s[16:17], s[10:11]
	s_mov_b64 s[4:5], s[0:1]
.LBB4_19:                               ; =>This Inner Loop Header: Depth=1
	s_mul_i32 s1, s6, s23
	s_mul_hi_u32 s3, s6, s19
	s_mul_i32 s26, s4, s13
	s_mul_hi_u32 s27, s4, s12
	s_mul_i32 s25, s7, s19
	s_mul_i32 s28, s5, s12
	s_add_i32 s1, s3, s1
	s_add_i32 s3, s27, s26
	s_mul_i32 s0, s6, s19
	s_mul_i32 s24, s4, s12
	s_add_i32 s1, s1, s25
	s_add_i32 s25, s3, s28
	s_lshl_b64 s[24:25], s[24:25], 2
	s_lshl_b64 s[0:1], s[0:1], 2
	v_mov_b32_e32 v9, s25
	v_mov_b32_e32 v15, s1
	v_add_co_u32_e32 v14, vcc, s0, v6
	v_add_co_u32_e64 v16, s[0:1], s24, v6
	s_add_u32 s3, s4, 2
	v_addc_co_u32_e64 v17, s[0:1], v8, v9, s[0:1]
	s_addc_u32 s1, s5, 0
	s_mul_i32 s25, s3, s13
	s_mul_hi_u32 s26, s3, s12
	s_mul_i32 s0, s3, s12
	s_add_u32 s3, s6, 2
	s_addc_u32 s27, s7, 0
	s_mul_i32 s28, s3, s23
	s_mul_hi_u32 s29, s3, s19
	s_mul_i32 s1, s1, s12
	s_mul_i32 s24, s3, s19
	s_add_i32 s3, s26, s25
	s_add_i32 s25, s29, s28
	s_mul_i32 s27, s27, s19
	s_add_i32 s1, s3, s1
	s_add_i32 s25, s25, s27
	ds_read2_b32 v[10:11], v7 offset1:1
	ds_read2_b32 v[12:13], v7 offset0:2 offset1:3
	s_lshl_b64 s[0:1], s[0:1], 2
	s_lshl_b64 s[24:25], s[24:25], 2
	s_add_u32 s6, s6, 4
	s_addc_u32 s7, s7, 0
	v_addc_co_u32_e32 v15, vcc, v8, v15, vcc
	s_add_u32 s4, s4, 4
	s_waitcnt lgkmcnt(1)
	global_store_dword v[16:17], v10, off
	global_store_dword v[14:15], v11, off
	v_mov_b32_e32 v9, s1
	v_add_co_u32_e32 v10, vcc, s0, v6
	s_addc_u32 s5, s5, 0
	v_addc_co_u32_e32 v11, vcc, v8, v9, vcc
	s_add_u32 s16, s16, -4
	v_mov_b32_e32 v9, s25
	v_add_co_u32_e32 v14, vcc, s24, v6
	s_addc_u32 s17, s17, -1
	v_add_u32_e32 v7, 16, v7
	v_addc_co_u32_e32 v15, vcc, v8, v9, vcc
	s_cmp_lg_u64 s[16:17], 0
	s_waitcnt lgkmcnt(0)
	global_store_dword v[10:11], v12, off
	global_store_dword v[14:15], v13, off
	s_cbranch_scc1 .LBB4_19
; %bb.20:
	s_mul_i32 s0, s11, s2
	s_mul_hi_u32 s1, s10, s2
	s_add_i32 s5, s1, s0
	s_cmp_lg_u64 s[14:15], s[10:11]
	s_mul_i32 s4, s10, s2
	s_cselect_b64 s[0:1], -1, 0
.LBB4_21:
	s_and_b64 vcc, exec, s[0:1]
	s_cbranch_vccz .LBB4_24
; %bb.22:
	s_lshl_b64 s[0:1], s[4:5], 2
	v_lshlrev_b64 v[2:3], 2, v[2:3]
	v_mov_b32_e32 v6, s1
	v_add_co_u32_e32 v2, vcc, s0, v2
	v_addc_co_u32_e32 v3, vcc, v6, v3, vcc
	v_mul_lo_u32 v6, s12, v3
	v_mul_lo_u32 v7, s13, v2
	v_mad_u64_u32 v[2:3], s[0:1], s12, v2, v[4:5]
	s_add_i32 s19, s22, s21
	v_add3_u32 v3, v7, v3, v6
	v_mov_b32_e32 v4, s9
	v_add_co_u32_e32 v2, vcc, s8, v2
	s_lshl_b64 s[6:7], s[18:19], 2
	v_add_u32_e32 v0, s4, v0
	v_addc_co_u32_e32 v3, vcc, v4, v3, vcc
	v_lshl_add_u32 v0, v0, 2, v1
	s_lshl_b32 s3, s20, 2
	v_mov_b32_e32 v1, s7
.LBB4_23:                               ; =>This Inner Loop Header: Depth=1
	ds_read_b32 v4, v0
	s_add_u32 s4, s4, s2
	s_addc_u32 s5, s5, 0
	v_cmp_gt_u64_e64 s[0:1], s[4:5], 63
	s_and_b64 vcc, exec, s[0:1]
	s_waitcnt lgkmcnt(0)
	global_store_dword v[2:3], v4, off
	v_add_co_u32_e64 v2, s[0:1], s6, v2
	v_add_u32_e32 v0, s3, v0
	v_addc_co_u32_e64 v3, s[0:1], v3, v1, s[0:1]
	s_cbranch_vccz .LBB4_23
.LBB4_24:
	s_endpgm
	.section	.rodata,"a",@progbits
	.p2align	6, 0x0
	.amdhsa_kernel _Z27transposeLdsNoBankConflictsIfEvPT_PKS0_m
		.amdhsa_group_segment_fixed_size 16640
		.amdhsa_private_segment_fixed_size 0
		.amdhsa_kernarg_size 280
		.amdhsa_user_sgpr_count 6
		.amdhsa_user_sgpr_private_segment_buffer 1
		.amdhsa_user_sgpr_dispatch_ptr 0
		.amdhsa_user_sgpr_queue_ptr 0
		.amdhsa_user_sgpr_kernarg_segment_ptr 1
		.amdhsa_user_sgpr_dispatch_id 0
		.amdhsa_user_sgpr_flat_scratch_init 0
		.amdhsa_user_sgpr_kernarg_preload_length 0
		.amdhsa_user_sgpr_kernarg_preload_offset 0
		.amdhsa_user_sgpr_private_segment_size 0
		.amdhsa_uses_dynamic_stack 0
		.amdhsa_system_sgpr_private_segment_wavefront_offset 0
		.amdhsa_system_sgpr_workgroup_id_x 1
		.amdhsa_system_sgpr_workgroup_id_y 1
		.amdhsa_system_sgpr_workgroup_id_z 0
		.amdhsa_system_sgpr_workgroup_info 0
		.amdhsa_system_vgpr_workitem_id 1
		.amdhsa_next_free_vgpr 18
		.amdhsa_next_free_sgpr 36
		.amdhsa_accum_offset 20
		.amdhsa_reserve_vcc 1
		.amdhsa_reserve_flat_scratch 0
		.amdhsa_float_round_mode_32 0
		.amdhsa_float_round_mode_16_64 0
		.amdhsa_float_denorm_mode_32 3
		.amdhsa_float_denorm_mode_16_64 3
		.amdhsa_dx10_clamp 1
		.amdhsa_ieee_mode 1
		.amdhsa_fp16_overflow 0
		.amdhsa_tg_split 0
		.amdhsa_exception_fp_ieee_invalid_op 0
		.amdhsa_exception_fp_denorm_src 0
		.amdhsa_exception_fp_ieee_div_zero 0
		.amdhsa_exception_fp_ieee_overflow 0
		.amdhsa_exception_fp_ieee_underflow 0
		.amdhsa_exception_fp_ieee_inexact 0
		.amdhsa_exception_int_div_zero 0
	.end_amdhsa_kernel
	.section	.text._Z27transposeLdsNoBankConflictsIfEvPT_PKS0_m,"axG",@progbits,_Z27transposeLdsNoBankConflictsIfEvPT_PKS0_m,comdat
.Lfunc_end4:
	.size	_Z27transposeLdsNoBankConflictsIfEvPT_PKS0_m, .Lfunc_end4-_Z27transposeLdsNoBankConflictsIfEvPT_PKS0_m
                                        ; -- End function
	.section	.AMDGPU.csdata,"",@progbits
; Kernel info:
; codeLenInByte = 1936
; NumSgprs: 40
; NumVgprs: 18
; NumAgprs: 0
; TotalNumVgprs: 18
; ScratchSize: 0
; MemoryBound: 0
; FloatMode: 240
; IeeeMode: 1
; LDSByteSize: 16640 bytes/workgroup (compile time only)
; SGPRBlocks: 4
; VGPRBlocks: 2
; NumSGPRsForWavesPerEU: 40
; NumVGPRsForWavesPerEU: 18
; AccumOffset: 20
; Occupancy: 8
; WaveLimiterHint : 0
; COMPUTE_PGM_RSRC2:SCRATCH_EN: 0
; COMPUTE_PGM_RSRC2:USER_SGPR: 6
; COMPUTE_PGM_RSRC2:TRAP_HANDLER: 0
; COMPUTE_PGM_RSRC2:TGID_X_EN: 1
; COMPUTE_PGM_RSRC2:TGID_Y_EN: 1
; COMPUTE_PGM_RSRC2:TGID_Z_EN: 0
; COMPUTE_PGM_RSRC2:TIDIG_COMP_CNT: 1
; COMPUTE_PGM_RSRC3_GFX90A:ACCUM_OFFSET: 4
; COMPUTE_PGM_RSRC3_GFX90A:TG_SPLIT: 0
	.section	.text._Z23transposeLdsSwapInplaceIfEvPT_PKS0_m,"axG",@progbits,_Z23transposeLdsSwapInplaceIfEvPT_PKS0_m,comdat
	.protected	_Z23transposeLdsSwapInplaceIfEvPT_PKS0_m ; -- Begin function _Z23transposeLdsSwapInplaceIfEvPT_PKS0_m
	.globl	_Z23transposeLdsSwapInplaceIfEvPT_PKS0_m
	.p2align	8
	.type	_Z23transposeLdsSwapInplaceIfEvPT_PKS0_m,@function
_Z23transposeLdsSwapInplaceIfEvPT_PKS0_m: ; @_Z23transposeLdsSwapInplaceIfEvPT_PKS0_m
; %bb.0:
	s_load_dwordx4 s[8:11], s[4:5], 0x0
	s_load_dwordx2 s[12:13], s[4:5], 0x10
	v_and_b32_e32 v6, 0x3ff, v0
	v_bfe_u32 v0, v0, 10, 10
	s_lshl_b32 s6, s6, 6
	v_mov_b32_e32 v1, 0
	v_cmp_gt_u32_e64 s[0:1], 64, v0
	s_and_saveexec_b64 s[14:15], s[0:1]
	s_cbranch_execz .LBB5_12
; %bb.1:
	s_load_dword s2, s[4:5], 0x24
	s_mov_b32 s19, 0
                                        ; implicit-def: $vgpr8_vgpr9
	s_waitcnt lgkmcnt(0)
	s_lshr_b32 s18, s2, 16
	v_add_co_u32_e32 v4, vcc, s18, v0
	v_addc_co_u32_e64 v5, s[2:3], 0, 0, vcc
	v_cmp_lt_u64_e32 vcc, 64, v[4:5]
	v_cndmask_b32_e32 v7, 0, v5, vcc
	v_cndmask_b32_e32 v3, 64, v4, vcc
	v_cmp_gt_u64_e32 vcc, 64, v[4:5]
	v_cndmask_b32_e64 v2, 0, 1, vcc
	v_add_co_u32_e32 v4, vcc, v4, v2
	v_addc_co_u32_e32 v5, vcc, 0, v5, vcc
	v_sub_co_u32_e32 v3, vcc, v3, v4
	v_subb_co_u32_e32 v5, vcc, v7, v5, vcc
	v_mov_b32_e32 v4, v1
	v_cmp_ne_u64_e32 vcc, 0, v[4:5]
	s_and_saveexec_b64 s[2:3], vcc
	s_xor_b64 s[16:17], exec, s[2:3]
	s_cbranch_execz .LBB5_3
; %bb.2:
	v_cvt_f32_u32_e32 v4, s18
	v_mov_b32_e32 v7, 0x4f800000
	s_sub_u32 s2, 0, s18
	s_subb_u32 s3, 0, 0
	v_mac_f32_e32 v4, 0, v7
	v_rcp_f32_e32 v4, v4
	v_mul_f32_e32 v4, 0x5f7ffffc, v4
	v_mul_f32_e32 v7, 0x2f800000, v4
	v_trunc_f32_e32 v7, v7
	v_madmk_f32 v4, v7, 0xcf800000, v4
	v_cvt_u32_f32_e32 v7, v7
	v_cvt_u32_f32_e32 v4, v4
	v_mul_lo_u32 v8, s2, v7
	v_mul_hi_u32 v10, s2, v4
	v_mul_lo_u32 v9, s3, v4
	v_add_u32_e32 v8, v10, v8
	v_mul_lo_u32 v11, s2, v4
	v_add_u32_e32 v8, v8, v9
	v_mul_hi_u32 v10, v4, v11
	v_mul_lo_u32 v12, v4, v8
	v_mul_hi_u32 v9, v4, v8
	v_add_co_u32_e32 v10, vcc, v10, v12
	v_addc_co_u32_e32 v9, vcc, 0, v9, vcc
	v_mul_hi_u32 v13, v7, v11
	v_mul_lo_u32 v11, v7, v11
	v_add_co_u32_e32 v10, vcc, v10, v11
	v_mul_hi_u32 v12, v7, v8
	v_addc_co_u32_e32 v9, vcc, v9, v13, vcc
	v_addc_co_u32_e32 v10, vcc, 0, v12, vcc
	v_mul_lo_u32 v8, v7, v8
	v_add_co_u32_e32 v8, vcc, v9, v8
	v_addc_co_u32_e32 v9, vcc, 0, v10, vcc
	v_add_co_u32_e32 v4, vcc, v4, v8
	v_addc_co_u32_e32 v7, vcc, v7, v9, vcc
	v_mul_lo_u32 v8, s2, v7
	v_mul_hi_u32 v9, s2, v4
	v_add_u32_e32 v8, v9, v8
	v_mul_lo_u32 v9, s3, v4
	v_add_u32_e32 v8, v8, v9
	v_mul_lo_u32 v10, s2, v4
	v_mul_hi_u32 v11, v7, v10
	v_mul_lo_u32 v12, v7, v10
	v_mul_lo_u32 v14, v4, v8
	v_mul_hi_u32 v10, v4, v10
	v_mul_hi_u32 v13, v4, v8
	v_add_co_u32_e32 v10, vcc, v10, v14
	v_addc_co_u32_e32 v13, vcc, 0, v13, vcc
	v_add_co_u32_e32 v10, vcc, v10, v12
	v_mul_hi_u32 v9, v7, v8
	v_addc_co_u32_e32 v10, vcc, v13, v11, vcc
	v_addc_co_u32_e32 v9, vcc, 0, v9, vcc
	v_mul_lo_u32 v8, v7, v8
	v_add_co_u32_e32 v8, vcc, v10, v8
	v_addc_co_u32_e32 v9, vcc, 0, v9, vcc
	v_add_co_u32_e32 v4, vcc, v4, v8
	v_addc_co_u32_e32 v7, vcc, v7, v9, vcc
	v_mad_u64_u32 v[8:9], s[2:3], v3, v7, 0
	v_mul_hi_u32 v10, v3, v4
	v_add_co_u32_e32 v12, vcc, v10, v8
	v_addc_co_u32_e32 v13, vcc, 0, v9, vcc
	v_mad_u64_u32 v[10:11], s[2:3], v5, v4, 0
	v_add_co_u32_e32 v4, vcc, v12, v10
	v_mad_u64_u32 v[8:9], s[2:3], v5, v7, 0
	v_addc_co_u32_e32 v4, vcc, v13, v11, vcc
	v_addc_co_u32_e32 v7, vcc, 0, v9, vcc
	v_add_co_u32_e32 v12, vcc, v4, v8
	v_mad_u64_u32 v[8:9], s[2:3], s18, v12, 0
	v_addc_co_u32_e32 v7, vcc, 0, v7, vcc
	v_mov_b32_e32 v4, v9
	v_mad_u64_u32 v[10:11], s[2:3], s18, v7, v[4:5]
	v_sub_co_u32_e32 v3, vcc, v3, v8
	v_subb_co_u32_e32 v4, vcc, v5, v10, vcc
	v_subrev_co_u32_e32 v5, vcc, s18, v3
	v_subbrev_co_u32_e32 v8, vcc, 0, v4, vcc
	v_cmp_le_u32_e32 vcc, s18, v5
	v_cndmask_b32_e64 v5, 0, -1, vcc
	v_cmp_eq_u32_e32 vcc, 0, v8
	v_cndmask_b32_e32 v5, -1, v5, vcc
	v_add_co_u32_e32 v8, vcc, 2, v12
	v_addc_co_u32_e32 v9, vcc, 0, v7, vcc
	v_add_co_u32_e32 v10, vcc, 1, v12
	v_cmp_le_u32_e64 s[2:3], s18, v3
	v_addc_co_u32_e32 v11, vcc, 0, v7, vcc
	v_cndmask_b32_e64 v3, 0, -1, s[2:3]
	v_cmp_eq_u32_e64 s[2:3], 0, v4
	v_cmp_ne_u32_e32 vcc, 0, v5
	v_cndmask_b32_e64 v3, -1, v3, s[2:3]
	v_cndmask_b32_e32 v5, v11, v9, vcc
	v_cmp_ne_u32_e64 s[2:3], 0, v3
	v_cndmask_b32_e32 v3, v10, v8, vcc
	v_cndmask_b32_e64 v9, v7, v5, s[2:3]
	v_cndmask_b32_e64 v8, v12, v3, s[2:3]
                                        ; implicit-def: $vgpr3
.LBB5_3:
	s_andn2_saveexec_b64 s[2:3], s[16:17]
	s_cbranch_execz .LBB5_5
; %bb.4:
	v_cvt_f32_u32_e32 v4, s18
	s_sub_i32 s16, 0, s18
	v_mov_b32_e32 v9, 0
	v_rcp_iflag_f32_e32 v4, v4
	v_mul_f32_e32 v4, 0x4f7ffffe, v4
	v_cvt_u32_f32_e32 v4, v4
	v_mul_lo_u32 v5, s16, v4
	v_mul_hi_u32 v5, v4, v5
	v_add_u32_e32 v4, v4, v5
	v_mul_hi_u32 v4, v3, v4
	v_mul_lo_u32 v5, v4, s18
	v_sub_u32_e32 v3, v3, v5
	v_add_u32_e32 v7, 1, v4
	v_subrev_u32_e32 v5, s18, v3
	v_cmp_le_u32_e32 vcc, s18, v3
	v_cndmask_b32_e32 v3, v3, v5, vcc
	v_cndmask_b32_e32 v4, v4, v7, vcc
	v_add_u32_e32 v5, 1, v4
	v_cmp_le_u32_e32 vcc, s18, v3
	v_cndmask_b32_e32 v8, v4, v5, vcc
.LBB5_5:
	s_or_b64 exec, exec, s[2:3]
	v_add_co_u32_e32 v2, vcc, v8, v2
	v_addc_co_u32_e32 v3, vcc, 0, v9, vcc
	v_add_co_u32_e32 v10, vcc, 1, v2
	v_add_u32_e32 v4, s6, v6
	v_mov_b32_e32 v5, 0
	v_addc_co_u32_e32 v11, vcc, 0, v3, vcc
	s_lshl_b32 s20, s7, 6
	v_cmp_lt_u64_e32 vcc, 1, v[10:11]
	s_mov_b64 s[16:17], -1
	v_lshlrev_b64 v[8:9], 2, v[4:5]
	v_pk_mov_b32 v[2:3], v[0:1], v[0:1] op_sel:[0,1]
	s_and_saveexec_b64 s[2:3], vcc
	s_cbranch_execz .LBB5_9
; %bb.6:
	v_mov_b32_e32 v2, s11
	v_add_co_u32_e32 v7, vcc, s10, v8
	v_addc_co_u32_e32 v16, vcc, v2, v9, vcc
	v_mov_b32_e32 v3, s19
	v_add_co_u32_e32 v2, vcc, s18, v0
	v_addc_co_u32_e32 v3, vcc, 0, v3, vcc
	v_and_b32_e32 v12, -2, v10
	v_mov_b32_e32 v13, v11
	s_lshl_b32 s21, s18, 1
	s_mov_b32 s26, 0
	v_pk_mov_b32 v[4:5], v[2:3], v[2:3] op_sel:[0,1]
	s_mov_b32 s22, s21
	s_mov_b32 s23, s20
	;; [unrolled: 1-line block ×4, first 2 shown]
	s_mov_b64 s[16:17], 0
	v_mov_b32_e32 v17, s26
	v_mov_b32_e32 v18, s26
	v_lshlrev_b32_e32 v19, 2, v6
	v_mov_b32_e32 v20, s26
	v_mov_b32_e32 v21, s26
	v_pk_mov_b32 v[14:15], v[12:13], v[12:13] op_sel:[0,1]
	v_pk_mov_b32 v[2:3], v[0:1], v[0:1] op_sel:[0,1]
.LBB5_7:                                ; =>This Inner Loop Header: Depth=1
	v_add_co_u32_e32 v24, vcc, s20, v2
	v_addc_co_u32_e32 v25, vcc, v3, v17, vcc
	v_add_co_u32_e32 v22, vcc, s23, v4
	v_mul_lo_u32 v28, v25, s12
	v_mul_lo_u32 v29, v24, s13
	v_mad_u64_u32 v[24:25], s[26:27], v24, s12, 0
	v_addc_co_u32_e32 v23, vcc, v5, v18, vcc
	v_add3_u32 v25, v25, v29, v28
	v_mul_lo_u32 v26, v23, s24
	v_mul_lo_u32 v27, v22, s25
	v_mad_u64_u32 v[22:23], s[26:27], v22, s24, 0
	v_lshlrev_b64 v[24:25], 2, v[24:25]
	v_add3_u32 v23, v23, v27, v26
	v_add_co_u32_e32 v24, vcc, v7, v24
	v_lshlrev_b64 v[22:23], 2, v[22:23]
	v_addc_co_u32_e32 v25, vcc, v16, v25, vcc
	v_add_co_u32_e32 v22, vcc, v7, v22
	v_addc_co_u32_e32 v23, vcc, v16, v23, vcc
	global_load_dword v26, v[24:25], off
	global_load_dword v27, v[22:23], off
	v_lshl_add_u32 v23, v4, 8, v19
	v_add_co_u32_e32 v4, vcc, s22, v4
	v_addc_co_u32_e32 v5, vcc, v5, v20, vcc
	v_lshl_add_u32 v22, v2, 8, v19
	v_add_co_u32_e32 v2, vcc, s21, v2
	v_addc_co_u32_e32 v3, vcc, v3, v21, vcc
	v_add_co_u32_e32 v14, vcc, -2, v14
	v_addc_co_u32_e32 v15, vcc, -1, v15, vcc
	v_cmp_eq_u64_e32 vcc, 0, v[14:15]
	s_or_b64 s[16:17], vcc, s[16:17]
	s_waitcnt vmcnt(1)
	ds_write_b32 v22, v26
	s_waitcnt vmcnt(0)
	ds_write_b32 v23, v27
	s_andn2_b64 exec, exec, s[16:17]
	s_cbranch_execnz .LBB5_7
; %bb.8:
	s_or_b64 exec, exec, s[16:17]
	v_mad_u64_u32 v[2:3], s[16:17], v12, s18, v[0:1]
	v_mov_b32_e32 v4, v3
	v_mad_u64_u32 v[4:5], s[16:17], v13, s18, v[4:5]
	v_cmp_ne_u64_e32 vcc, v[10:11], v[12:13]
	v_mov_b32_e32 v3, v4
	s_orn2_b64 s[16:17], vcc, exec
.LBB5_9:
	s_or_b64 exec, exec, s[2:3]
	s_and_b64 exec, exec, s[16:17]
	s_cbranch_execz .LBB5_12
; %bb.10:
	v_lshlrev_b32_e32 v4, 2, v6
	v_lshl_add_u32 v7, v2, 8, v4
	v_add_co_u32_e32 v4, vcc, s20, v2
	v_addc_co_u32_e32 v5, vcc, 0, v3, vcc
	v_mul_lo_u32 v10, s13, v4
	v_mul_lo_u32 v11, s12, v5
	v_mad_u64_u32 v[4:5], s[2:3], s12, v4, 0
	v_add3_u32 v5, v5, v11, v10
	v_lshlrev_b64 v[4:5], 2, v[4:5]
	v_add_co_u32_e32 v4, vcc, v4, v8
	s_mul_i32 s2, s13, s18
	s_mul_hi_u32 s3, s12, s18
	v_addc_co_u32_e32 v5, vcc, v5, v9, vcc
	s_add_i32 s3, s3, s2
	s_mul_i32 s2, s12, s18
	v_mov_b32_e32 v8, s11
	v_add_co_u32_e32 v4, vcc, s10, v4
	s_lshl_b64 s[2:3], s[2:3], 2
	s_lshl_b32 s16, s18, 8
	v_addc_co_u32_e32 v5, vcc, v8, v5, vcc
	s_mov_b64 s[10:11], 0
	v_mov_b32_e32 v8, s19
	v_mov_b32_e32 v9, s3
.LBB5_11:                               ; =>This Inner Loop Header: Depth=1
	global_load_dword v10, v[4:5], off
	v_add_co_u32_e32 v2, vcc, s18, v2
	v_addc_co_u32_e32 v3, vcc, v3, v8, vcc
	v_add_co_u32_e32 v4, vcc, s2, v4
	v_addc_co_u32_e32 v5, vcc, v5, v9, vcc
	v_cmp_lt_u64_e32 vcc, 63, v[2:3]
	s_or_b64 s[10:11], vcc, s[10:11]
	s_waitcnt vmcnt(0)
	ds_write_b32 v7, v10
	v_add_u32_e32 v7, s16, v7
	s_andn2_b64 exec, exec, s[10:11]
	s_cbranch_execnz .LBB5_11
.LBB5_12:
	s_or_b64 exec, exec, s[14:15]
	v_lshlrev_b32_e32 v14, 2, v6
	s_waitcnt lgkmcnt(0)
	s_barrier
	s_and_saveexec_b64 s[2:3], s[0:1]
	s_cbranch_execz .LBB5_17
; %bb.13:
	s_load_dword s10, s[4:5], 0x24
	s_mov_b32 s14, 0
	v_lshlrev_b32_e32 v2, 2, v0
	v_mov_b32_e32 v7, 0
	v_lshl_add_u32 v4, v0, 8, v14
	s_waitcnt lgkmcnt(0)
	s_lshr_b32 s16, s10, 16
	s_lshl_b32 s17, s16, 8
	v_lshl_add_u32 v5, v6, 8, v2
	s_lshl_b32 s18, s16, 2
	s_mov_b64 s[10:11], 0
	v_mov_b32_e32 v8, s14
	v_pk_mov_b32 v[2:3], v[0:1], v[0:1] op_sel:[0,1]
	s_branch .LBB5_15
.LBB5_14:                               ;   in Loop: Header=BB5_15 Depth=1
	s_or_b64 exec, exec, s[14:15]
	v_add_co_u32_e32 v2, vcc, s16, v2
	v_addc_co_u32_e32 v3, vcc, v3, v8, vcc
	v_cmp_lt_u64_e32 vcc, 63, v[2:3]
	v_add_u32_e32 v4, s17, v4
	s_or_b64 s[10:11], vcc, s[10:11]
	v_add_u32_e32 v5, s18, v5
	s_andn2_b64 exec, exec, s[10:11]
	s_cbranch_execz .LBB5_17
.LBB5_15:                               ; =>This Inner Loop Header: Depth=1
	v_cmp_lt_u64_e32 vcc, v[2:3], v[6:7]
	s_and_saveexec_b64 s[14:15], vcc
	s_cbranch_execz .LBB5_14
; %bb.16:                               ;   in Loop: Header=BB5_15 Depth=1
	ds_read_b32 v9, v5
	ds_read_b32 v10, v4
	s_waitcnt lgkmcnt(1)
	ds_write_b32 v4, v9
	s_waitcnt lgkmcnt(1)
	ds_write_b32 v5, v10
	s_branch .LBB5_14
.LBB5_17:
	s_or_b64 exec, exec, s[2:3]
	s_waitcnt lgkmcnt(0)
	s_barrier
	s_and_saveexec_b64 s[2:3], s[0:1]
	s_cbranch_execz .LBB5_29
; %bb.18:
	s_load_dword s0, s[4:5], 0x24
	v_mov_b32_e32 v4, 0
	s_mov_b32 s5, 0
	s_waitcnt lgkmcnt(0)
	s_lshr_b32 s4, s0, 16
	v_add_co_u32_e32 v8, vcc, s4, v0
	v_addc_co_u32_e64 v9, s[0:1], 0, 0, vcc
	v_cmp_lt_u64_e32 vcc, 64, v[8:9]
	v_cndmask_b32_e32 v5, 0, v9, vcc
	v_cndmask_b32_e32 v3, 64, v8, vcc
	v_cmp_gt_u64_e32 vcc, 64, v[8:9]
	v_cndmask_b32_e64 v2, 0, 1, vcc
	v_add_co_u32_e32 v7, vcc, v8, v2
	v_addc_co_u32_e32 v8, vcc, 0, v9, vcc
	v_sub_co_u32_e32 v3, vcc, v3, v7
	v_subb_co_u32_e32 v5, vcc, v5, v8, vcc
	v_cmp_ne_u64_e32 vcc, 0, v[4:5]
                                        ; implicit-def: $vgpr8_vgpr9
	s_and_saveexec_b64 s[0:1], vcc
	s_xor_b64 s[2:3], exec, s[0:1]
	s_cbranch_execz .LBB5_20
; %bb.19:
	v_cvt_f32_u32_e32 v4, s4
	v_mov_b32_e32 v7, 0x4f800000
	s_sub_u32 s0, 0, s4
	s_subb_u32 s1, 0, 0
	v_mac_f32_e32 v4, 0, v7
	v_rcp_f32_e32 v4, v4
	v_mul_f32_e32 v4, 0x5f7ffffc, v4
	v_mul_f32_e32 v7, 0x2f800000, v4
	v_trunc_f32_e32 v7, v7
	v_madmk_f32 v4, v7, 0xcf800000, v4
	v_cvt_u32_f32_e32 v7, v7
	v_cvt_u32_f32_e32 v4, v4
	v_mul_lo_u32 v8, s0, v7
	v_mul_hi_u32 v10, s0, v4
	v_mul_lo_u32 v9, s1, v4
	v_add_u32_e32 v8, v10, v8
	v_mul_lo_u32 v11, s0, v4
	v_add_u32_e32 v8, v8, v9
	v_mul_hi_u32 v10, v4, v11
	v_mul_lo_u32 v12, v4, v8
	v_mul_hi_u32 v9, v4, v8
	v_add_co_u32_e32 v10, vcc, v10, v12
	v_addc_co_u32_e32 v9, vcc, 0, v9, vcc
	v_mul_hi_u32 v13, v7, v11
	v_mul_lo_u32 v11, v7, v11
	v_add_co_u32_e32 v10, vcc, v10, v11
	v_mul_hi_u32 v12, v7, v8
	v_addc_co_u32_e32 v9, vcc, v9, v13, vcc
	v_addc_co_u32_e32 v10, vcc, 0, v12, vcc
	v_mul_lo_u32 v8, v7, v8
	v_add_co_u32_e32 v8, vcc, v9, v8
	v_addc_co_u32_e32 v9, vcc, 0, v10, vcc
	v_add_co_u32_e32 v4, vcc, v4, v8
	v_addc_co_u32_e32 v7, vcc, v7, v9, vcc
	v_mul_lo_u32 v8, s0, v7
	v_mul_hi_u32 v9, s0, v4
	v_add_u32_e32 v8, v9, v8
	v_mul_lo_u32 v9, s1, v4
	v_add_u32_e32 v8, v8, v9
	v_mul_lo_u32 v10, s0, v4
	v_mul_hi_u32 v11, v7, v10
	v_mul_lo_u32 v12, v7, v10
	v_mul_lo_u32 v15, v4, v8
	v_mul_hi_u32 v10, v4, v10
	v_mul_hi_u32 v13, v4, v8
	v_add_co_u32_e32 v10, vcc, v10, v15
	v_addc_co_u32_e32 v13, vcc, 0, v13, vcc
	v_add_co_u32_e32 v10, vcc, v10, v12
	v_mul_hi_u32 v9, v7, v8
	v_addc_co_u32_e32 v10, vcc, v13, v11, vcc
	v_addc_co_u32_e32 v9, vcc, 0, v9, vcc
	v_mul_lo_u32 v8, v7, v8
	v_add_co_u32_e32 v8, vcc, v10, v8
	v_addc_co_u32_e32 v9, vcc, 0, v9, vcc
	v_add_co_u32_e32 v4, vcc, v4, v8
	v_addc_co_u32_e32 v7, vcc, v7, v9, vcc
	v_mad_u64_u32 v[8:9], s[0:1], v3, v7, 0
	v_mul_hi_u32 v10, v3, v4
	v_add_co_u32_e32 v12, vcc, v10, v8
	v_addc_co_u32_e32 v13, vcc, 0, v9, vcc
	v_mad_u64_u32 v[10:11], s[0:1], v5, v4, 0
	v_add_co_u32_e32 v4, vcc, v12, v10
	v_mad_u64_u32 v[8:9], s[0:1], v5, v7, 0
	v_addc_co_u32_e32 v4, vcc, v13, v11, vcc
	v_addc_co_u32_e32 v7, vcc, 0, v9, vcc
	v_add_co_u32_e32 v12, vcc, v4, v8
	v_mad_u64_u32 v[8:9], s[0:1], s4, v12, 0
	v_addc_co_u32_e32 v7, vcc, 0, v7, vcc
	v_mov_b32_e32 v4, v9
	v_mad_u64_u32 v[10:11], s[0:1], s4, v7, v[4:5]
	v_sub_co_u32_e32 v3, vcc, v3, v8
	v_subb_co_u32_e32 v4, vcc, v5, v10, vcc
	v_subrev_co_u32_e32 v5, vcc, s4, v3
	v_subbrev_co_u32_e32 v8, vcc, 0, v4, vcc
	v_cmp_le_u32_e32 vcc, s4, v5
	v_cndmask_b32_e64 v5, 0, -1, vcc
	v_cmp_eq_u32_e32 vcc, 0, v8
	v_cndmask_b32_e32 v5, -1, v5, vcc
	v_add_co_u32_e32 v8, vcc, 2, v12
	v_addc_co_u32_e32 v9, vcc, 0, v7, vcc
	v_add_co_u32_e32 v10, vcc, 1, v12
	v_cmp_le_u32_e64 s[0:1], s4, v3
	v_addc_co_u32_e32 v11, vcc, 0, v7, vcc
	v_cndmask_b32_e64 v3, 0, -1, s[0:1]
	v_cmp_eq_u32_e64 s[0:1], 0, v4
	v_cmp_ne_u32_e32 vcc, 0, v5
	v_cndmask_b32_e64 v3, -1, v3, s[0:1]
	v_cndmask_b32_e32 v5, v11, v9, vcc
	v_cmp_ne_u32_e64 s[0:1], 0, v3
	v_cndmask_b32_e32 v3, v10, v8, vcc
	v_cndmask_b32_e64 v9, v7, v5, s[0:1]
	v_cndmask_b32_e64 v8, v12, v3, s[0:1]
                                        ; implicit-def: $vgpr3
.LBB5_20:
	s_andn2_saveexec_b64 s[0:1], s[2:3]
	s_cbranch_execz .LBB5_22
; %bb.21:
	v_cvt_f32_u32_e32 v4, s4
	s_sub_i32 s2, 0, s4
	v_mov_b32_e32 v9, 0
	v_rcp_iflag_f32_e32 v4, v4
	v_mul_f32_e32 v4, 0x4f7ffffe, v4
	v_cvt_u32_f32_e32 v4, v4
	v_mul_lo_u32 v5, s2, v4
	v_mul_hi_u32 v5, v4, v5
	v_add_u32_e32 v4, v4, v5
	v_mul_hi_u32 v4, v3, v4
	v_mul_lo_u32 v5, v4, s4
	v_sub_u32_e32 v3, v3, v5
	v_add_u32_e32 v7, 1, v4
	v_subrev_u32_e32 v5, s4, v3
	v_cmp_le_u32_e32 vcc, s4, v3
	v_cndmask_b32_e32 v3, v3, v5, vcc
	v_cndmask_b32_e32 v4, v4, v7, vcc
	v_add_u32_e32 v5, 1, v4
	v_cmp_le_u32_e32 vcc, s4, v3
	v_cndmask_b32_e32 v8, v4, v5, vcc
.LBB5_22:
	s_or_b64 exec, exec, s[0:1]
	v_add_co_u32_e32 v2, vcc, v8, v2
	v_addc_co_u32_e32 v3, vcc, 0, v9, vcc
	v_add_co_u32_e32 v8, vcc, 1, v2
	v_lshl_add_u32 v4, s7, 6, v6
	v_mov_b32_e32 v5, 0
	v_addc_co_u32_e32 v9, vcc, 0, v3, vcc
	v_cmp_lt_u64_e32 vcc, 1, v[8:9]
	s_mov_b64 s[2:3], -1
	v_lshlrev_b64 v[6:7], 2, v[4:5]
	s_and_saveexec_b64 s[0:1], vcc
	s_cbranch_execz .LBB5_26
; %bb.23:
	v_mov_b32_e32 v2, s9
	v_add_co_u32_e32 v15, vcc, s8, v6
	v_addc_co_u32_e32 v16, vcc, v2, v7, vcc
	v_mov_b32_e32 v3, s5
	v_add_co_u32_e32 v2, vcc, s4, v0
	v_addc_co_u32_e32 v3, vcc, 0, v3, vcc
	v_and_b32_e32 v10, -2, v8
	v_mov_b32_e32 v11, v9
	s_lshl_b32 s7, s4, 1
	s_mov_b32 s16, 0
	v_pk_mov_b32 v[4:5], v[2:3], v[2:3] op_sel:[0,1]
	s_mov_b32 s10, s7
	s_mov_b32 s11, s6
	;; [unrolled: 1-line block ×4, first 2 shown]
	s_mov_b64 s[2:3], 0
	v_mov_b32_e32 v17, s16
	v_mov_b32_e32 v18, s16
	;; [unrolled: 1-line block ×4, first 2 shown]
	v_pk_mov_b32 v[12:13], v[10:11], v[10:11] op_sel:[0,1]
	v_pk_mov_b32 v[2:3], v[0:1], v[0:1] op_sel:[0,1]
.LBB5_24:                               ; =>This Inner Loop Header: Depth=1
	v_add_co_u32_e32 v24, vcc, s6, v2
	v_addc_co_u32_e32 v25, vcc, v3, v17, vcc
	v_add_co_u32_e32 v23, vcc, s11, v4
	v_addc_co_u32_e32 v26, vcc, v5, v18, vcc
	v_lshl_add_u32 v22, v4, 8, v14
	v_add_co_u32_e32 v4, vcc, s10, v4
	v_addc_co_u32_e32 v5, vcc, v5, v19, vcc
	v_lshl_add_u32 v21, v2, 8, v14
	v_add_co_u32_e32 v2, vcc, s7, v2
	v_addc_co_u32_e32 v3, vcc, v3, v20, vcc
	v_add_co_u32_e32 v12, vcc, -2, v12
	v_mul_lo_u32 v29, v25, s12
	v_mul_lo_u32 v30, v24, s13
	v_mad_u64_u32 v[24:25], s[16:17], v24, s12, 0
	v_addc_co_u32_e32 v13, vcc, -1, v13, vcc
	ds_read_b32 v21, v21
	ds_read_b32 v27, v22
	v_add3_u32 v25, v25, v30, v29
	v_mul_lo_u32 v26, v26, s14
	v_mul_lo_u32 v28, v23, s15
	v_mad_u64_u32 v[22:23], s[16:17], v23, s14, 0
	v_cmp_eq_u64_e32 vcc, 0, v[12:13]
	v_lshlrev_b64 v[24:25], 2, v[24:25]
	v_add3_u32 v23, v23, v28, v26
	s_or_b64 s[2:3], vcc, s[2:3]
	v_add_co_u32_e32 v24, vcc, v15, v24
	v_lshlrev_b64 v[22:23], 2, v[22:23]
	v_addc_co_u32_e32 v25, vcc, v16, v25, vcc
	v_add_co_u32_e32 v22, vcc, v15, v22
	v_addc_co_u32_e32 v23, vcc, v16, v23, vcc
	s_waitcnt lgkmcnt(1)
	global_store_dword v[24:25], v21, off
	s_waitcnt lgkmcnt(0)
	global_store_dword v[22:23], v27, off
	s_andn2_b64 exec, exec, s[2:3]
	s_cbranch_execnz .LBB5_24
; %bb.25:
	s_or_b64 exec, exec, s[2:3]
	v_mad_u64_u32 v[0:1], s[2:3], v10, s4, v[0:1]
	v_mov_b32_e32 v2, v1
	v_mad_u64_u32 v[2:3], s[2:3], v11, s4, v[2:3]
	v_cmp_ne_u64_e32 vcc, v[8:9], v[10:11]
	v_mov_b32_e32 v1, v2
	s_orn2_b64 s[2:3], vcc, exec
.LBB5_26:
	s_or_b64 exec, exec, s[0:1]
	s_and_b64 exec, exec, s[2:3]
	s_cbranch_execz .LBB5_29
; %bb.27:
	v_add_co_u32_e32 v2, vcc, s6, v0
	v_addc_co_u32_e32 v3, vcc, 0, v1, vcc
	v_mul_lo_u32 v5, s13, v2
	v_mul_lo_u32 v8, s12, v3
	v_mad_u64_u32 v[2:3], s[0:1], s12, v2, 0
	v_add3_u32 v3, v3, v8, v5
	v_lshlrev_b64 v[2:3], 2, v[2:3]
	v_add_co_u32_e32 v2, vcc, v2, v6
	s_mul_i32 s0, s13, s4
	s_mul_hi_u32 s1, s12, s4
	v_addc_co_u32_e32 v3, vcc, v3, v7, vcc
	s_add_i32 s1, s1, s0
	s_mul_i32 s0, s12, s4
	v_mov_b32_e32 v5, s9
	v_add_co_u32_e32 v2, vcc, s8, v2
	s_lshl_b64 s[0:1], s[0:1], 2
	v_lshl_add_u32 v4, v0, 8, v14
	s_lshl_b32 s7, s4, 8
	v_addc_co_u32_e32 v3, vcc, v5, v3, vcc
	s_mov_b64 s[2:3], 0
	v_mov_b32_e32 v5, s5
	v_mov_b32_e32 v6, s1
.LBB5_28:                               ; =>This Inner Loop Header: Depth=1
	ds_read_b32 v7, v4
	v_add_co_u32_e32 v0, vcc, s4, v0
	v_addc_co_u32_e32 v1, vcc, v1, v5, vcc
	v_cmp_lt_u64_e32 vcc, 63, v[0:1]
	s_or_b64 s[2:3], vcc, s[2:3]
	s_waitcnt lgkmcnt(0)
	global_store_dword v[2:3], v7, off
	v_add_co_u32_e32 v2, vcc, s0, v2
	v_add_u32_e32 v4, s7, v4
	v_addc_co_u32_e32 v3, vcc, v3, v6, vcc
	s_andn2_b64 exec, exec, s[2:3]
	s_cbranch_execnz .LBB5_28
.LBB5_29:
	s_endpgm
	.section	.rodata,"a",@progbits
	.p2align	6, 0x0
	.amdhsa_kernel _Z23transposeLdsSwapInplaceIfEvPT_PKS0_m
		.amdhsa_group_segment_fixed_size 16384
		.amdhsa_private_segment_fixed_size 0
		.amdhsa_kernarg_size 280
		.amdhsa_user_sgpr_count 6
		.amdhsa_user_sgpr_private_segment_buffer 1
		.amdhsa_user_sgpr_dispatch_ptr 0
		.amdhsa_user_sgpr_queue_ptr 0
		.amdhsa_user_sgpr_kernarg_segment_ptr 1
		.amdhsa_user_sgpr_dispatch_id 0
		.amdhsa_user_sgpr_flat_scratch_init 0
		.amdhsa_user_sgpr_kernarg_preload_length 0
		.amdhsa_user_sgpr_kernarg_preload_offset 0
		.amdhsa_user_sgpr_private_segment_size 0
		.amdhsa_uses_dynamic_stack 0
		.amdhsa_system_sgpr_private_segment_wavefront_offset 0
		.amdhsa_system_sgpr_workgroup_id_x 1
		.amdhsa_system_sgpr_workgroup_id_y 1
		.amdhsa_system_sgpr_workgroup_id_z 0
		.amdhsa_system_sgpr_workgroup_info 0
		.amdhsa_system_vgpr_workitem_id 1
		.amdhsa_next_free_vgpr 31
		.amdhsa_next_free_sgpr 28
		.amdhsa_accum_offset 32
		.amdhsa_reserve_vcc 1
		.amdhsa_reserve_flat_scratch 0
		.amdhsa_float_round_mode_32 0
		.amdhsa_float_round_mode_16_64 0
		.amdhsa_float_denorm_mode_32 3
		.amdhsa_float_denorm_mode_16_64 3
		.amdhsa_dx10_clamp 1
		.amdhsa_ieee_mode 1
		.amdhsa_fp16_overflow 0
		.amdhsa_tg_split 0
		.amdhsa_exception_fp_ieee_invalid_op 0
		.amdhsa_exception_fp_denorm_src 0
		.amdhsa_exception_fp_ieee_div_zero 0
		.amdhsa_exception_fp_ieee_overflow 0
		.amdhsa_exception_fp_ieee_underflow 0
		.amdhsa_exception_fp_ieee_inexact 0
		.amdhsa_exception_int_div_zero 0
	.end_amdhsa_kernel
	.section	.text._Z23transposeLdsSwapInplaceIfEvPT_PKS0_m,"axG",@progbits,_Z23transposeLdsSwapInplaceIfEvPT_PKS0_m,comdat
.Lfunc_end5:
	.size	_Z23transposeLdsSwapInplaceIfEvPT_PKS0_m, .Lfunc_end5-_Z23transposeLdsSwapInplaceIfEvPT_PKS0_m
                                        ; -- End function
	.section	.AMDGPU.csdata,"",@progbits
; Kernel info:
; codeLenInByte = 2908
; NumSgprs: 32
; NumVgprs: 31
; NumAgprs: 0
; TotalNumVgprs: 31
; ScratchSize: 0
; MemoryBound: 0
; FloatMode: 240
; IeeeMode: 1
; LDSByteSize: 16384 bytes/workgroup (compile time only)
; SGPRBlocks: 3
; VGPRBlocks: 3
; NumSGPRsForWavesPerEU: 32
; NumVGPRsForWavesPerEU: 31
; AccumOffset: 32
; Occupancy: 8
; WaveLimiterHint : 0
; COMPUTE_PGM_RSRC2:SCRATCH_EN: 0
; COMPUTE_PGM_RSRC2:USER_SGPR: 6
; COMPUTE_PGM_RSRC2:TRAP_HANDLER: 0
; COMPUTE_PGM_RSRC2:TGID_X_EN: 1
; COMPUTE_PGM_RSRC2:TGID_Y_EN: 1
; COMPUTE_PGM_RSRC2:TGID_Z_EN: 0
; COMPUTE_PGM_RSRC2:TIDIG_COMP_CNT: 1
; COMPUTE_PGM_RSRC3_GFX90A:ACCUM_OFFSET: 7
; COMPUTE_PGM_RSRC3_GFX90A:TG_SPLIT: 0
	.section	.text._Z14transposeNaiveIdEvPT_PKS0_m,"axG",@progbits,_Z14transposeNaiveIdEvPT_PKS0_m,comdat
	.protected	_Z14transposeNaiveIdEvPT_PKS0_m ; -- Begin function _Z14transposeNaiveIdEvPT_PKS0_m
	.globl	_Z14transposeNaiveIdEvPT_PKS0_m
	.p2align	8
	.type	_Z14transposeNaiveIdEvPT_PKS0_m,@function
_Z14transposeNaiveIdEvPT_PKS0_m:        ; @_Z14transposeNaiveIdEvPT_PKS0_m
; %bb.0:
	v_bfe_u32 v2, v0, 10, 10
	v_cmp_gt_u32_e32 vcc, 64, v2
	s_and_saveexec_b64 s[0:1], vcc
	s_cbranch_execz .LBB6_3
; %bb.1:
	s_load_dwordx4 s[0:3], s[4:5], 0x0
	s_load_dwordx2 s[8:9], s[4:5], 0x10
	s_load_dword s12, s[4:5], 0x24
	v_and_b32_e32 v0, 0x3ff, v0
	v_lshl_add_u32 v4, s6, 6, v0
	s_lshl_b32 s10, s7, 6
	s_waitcnt lgkmcnt(0)
	v_mad_u64_u32 v[0:1], s[6:7], s8, v4, 0
	v_mov_b32_e32 v6, v1
	v_mad_u64_u32 v[6:7], s[6:7], s9, v4, v[6:7]
	s_mov_b32 s11, 0
	v_mov_b32_e32 v1, v6
	s_lshr_b32 s4, s12, 16
	v_lshlrev_b64 v[0:1], 3, v[0:1]
	v_lshlrev_b32_e32 v6, 3, v2
	s_lshl_b64 s[6:7], s[10:11], 3
	v_add_co_u32_e32 v0, vcc, v0, v6
	s_add_u32 s0, s0, s6
	v_addc_co_u32_e32 v1, vcc, 0, v1, vcc
	s_addc_u32 s1, s1, s7
	v_mov_b32_e32 v6, s1
	v_add_co_u32_e32 v0, vcc, s0, v0
	v_addc_co_u32_e32 v1, vcc, v6, v1, vcc
	v_add_co_u32_e32 v6, vcc, s10, v2
	v_addc_co_u32_e64 v7, s[0:1], 0, 0, vcc
	v_mul_lo_u32 v8, s9, v6
	v_mul_lo_u32 v9, s8, v7
	v_mad_u64_u32 v[6:7], s[0:1], s8, v6, 0
	v_mov_b32_e32 v5, 0
	v_add3_u32 v7, v7, v9, v8
	v_mov_b32_e32 v3, v5
	v_lshlrev_b64 v[6:7], 3, v[6:7]
	v_lshlrev_b64 v[4:5], 3, v[4:5]
	v_add_co_u32_e32 v4, vcc, v6, v4
	s_mul_i32 s0, s9, s4
	s_mul_hi_u32 s1, s8, s4
	v_addc_co_u32_e32 v5, vcc, v7, v5, vcc
	s_add_i32 s1, s1, s0
	s_mul_i32 s0, s8, s4
	v_mov_b32_e32 v6, s3
	v_add_co_u32_e32 v4, vcc, s2, v4
	s_lshl_b64 s[0:1], s[0:1], 3
	s_lshl_b32 s5, s4, 3
	v_addc_co_u32_e32 v5, vcc, v6, v5, vcc
	s_mov_b64 s[2:3], 0
	v_mov_b32_e32 v6, s11
	v_mov_b32_e32 v7, s11
	;; [unrolled: 1-line block ×3, first 2 shown]
.LBB6_2:                                ; =>This Inner Loop Header: Depth=1
	global_load_dwordx2 v[10:11], v[4:5], off
	v_add_co_u32_e32 v2, vcc, s4, v2
	v_addc_co_u32_e32 v3, vcc, v3, v6, vcc
	v_add_co_u32_e32 v4, vcc, s0, v4
	v_addc_co_u32_e32 v5, vcc, v5, v8, vcc
	v_cmp_lt_u64_e32 vcc, 63, v[2:3]
	s_or_b64 s[2:3], vcc, s[2:3]
	s_waitcnt vmcnt(0)
	global_store_dwordx2 v[0:1], v[10:11], off
	v_add_co_u32_e32 v0, vcc, s5, v0
	v_addc_co_u32_e32 v1, vcc, v1, v7, vcc
	s_andn2_b64 exec, exec, s[2:3]
	s_cbranch_execnz .LBB6_2
.LBB6_3:
	s_endpgm
	.section	.rodata,"a",@progbits
	.p2align	6, 0x0
	.amdhsa_kernel _Z14transposeNaiveIdEvPT_PKS0_m
		.amdhsa_group_segment_fixed_size 0
		.amdhsa_private_segment_fixed_size 0
		.amdhsa_kernarg_size 280
		.amdhsa_user_sgpr_count 6
		.amdhsa_user_sgpr_private_segment_buffer 1
		.amdhsa_user_sgpr_dispatch_ptr 0
		.amdhsa_user_sgpr_queue_ptr 0
		.amdhsa_user_sgpr_kernarg_segment_ptr 1
		.amdhsa_user_sgpr_dispatch_id 0
		.amdhsa_user_sgpr_flat_scratch_init 0
		.amdhsa_user_sgpr_kernarg_preload_length 0
		.amdhsa_user_sgpr_kernarg_preload_offset 0
		.amdhsa_user_sgpr_private_segment_size 0
		.amdhsa_uses_dynamic_stack 0
		.amdhsa_system_sgpr_private_segment_wavefront_offset 0
		.amdhsa_system_sgpr_workgroup_id_x 1
		.amdhsa_system_sgpr_workgroup_id_y 1
		.amdhsa_system_sgpr_workgroup_id_z 0
		.amdhsa_system_sgpr_workgroup_info 0
		.amdhsa_system_vgpr_workitem_id 1
		.amdhsa_next_free_vgpr 12
		.amdhsa_next_free_sgpr 13
		.amdhsa_accum_offset 12
		.amdhsa_reserve_vcc 1
		.amdhsa_reserve_flat_scratch 0
		.amdhsa_float_round_mode_32 0
		.amdhsa_float_round_mode_16_64 0
		.amdhsa_float_denorm_mode_32 3
		.amdhsa_float_denorm_mode_16_64 3
		.amdhsa_dx10_clamp 1
		.amdhsa_ieee_mode 1
		.amdhsa_fp16_overflow 0
		.amdhsa_tg_split 0
		.amdhsa_exception_fp_ieee_invalid_op 0
		.amdhsa_exception_fp_denorm_src 0
		.amdhsa_exception_fp_ieee_div_zero 0
		.amdhsa_exception_fp_ieee_overflow 0
		.amdhsa_exception_fp_ieee_underflow 0
		.amdhsa_exception_fp_ieee_inexact 0
		.amdhsa_exception_int_div_zero 0
	.end_amdhsa_kernel
	.section	.text._Z14transposeNaiveIdEvPT_PKS0_m,"axG",@progbits,_Z14transposeNaiveIdEvPT_PKS0_m,comdat
.Lfunc_end6:
	.size	_Z14transposeNaiveIdEvPT_PKS0_m, .Lfunc_end6-_Z14transposeNaiveIdEvPT_PKS0_m
                                        ; -- End function
	.section	.AMDGPU.csdata,"",@progbits
; Kernel info:
; codeLenInByte = 336
; NumSgprs: 17
; NumVgprs: 12
; NumAgprs: 0
; TotalNumVgprs: 12
; ScratchSize: 0
; MemoryBound: 0
; FloatMode: 240
; IeeeMode: 1
; LDSByteSize: 0 bytes/workgroup (compile time only)
; SGPRBlocks: 2
; VGPRBlocks: 1
; NumSGPRsForWavesPerEU: 17
; NumVGPRsForWavesPerEU: 12
; AccumOffset: 12
; Occupancy: 8
; WaveLimiterHint : 0
; COMPUTE_PGM_RSRC2:SCRATCH_EN: 0
; COMPUTE_PGM_RSRC2:USER_SGPR: 6
; COMPUTE_PGM_RSRC2:TRAP_HANDLER: 0
; COMPUTE_PGM_RSRC2:TGID_X_EN: 1
; COMPUTE_PGM_RSRC2:TGID_Y_EN: 1
; COMPUTE_PGM_RSRC2:TGID_Z_EN: 0
; COMPUTE_PGM_RSRC2:TIDIG_COMP_CNT: 1
; COMPUTE_PGM_RSRC3_GFX90A:ACCUM_OFFSET: 2
; COMPUTE_PGM_RSRC3_GFX90A:TG_SPLIT: 0
	.section	.text._Z27transposeLdsNoBankConflictsIdEvPT_PKS0_m,"axG",@progbits,_Z27transposeLdsNoBankConflictsIdEvPT_PKS0_m,comdat
	.protected	_Z27transposeLdsNoBankConflictsIdEvPT_PKS0_m ; -- Begin function _Z27transposeLdsNoBankConflictsIdEvPT_PKS0_m
	.globl	_Z27transposeLdsNoBankConflictsIdEvPT_PKS0_m
	.p2align	8
	.type	_Z27transposeLdsNoBankConflictsIdEvPT_PKS0_m,@function
_Z27transposeLdsNoBankConflictsIdEvPT_PKS0_m: ; @_Z27transposeLdsNoBankConflictsIdEvPT_PKS0_m
; %bb.0:
	s_load_dwordx4 s[0:3], s[4:5], 0x0
	s_load_dwordx2 s[8:9], s[4:5], 0x10
	s_load_dword s11, s[4:5], 0x24
	s_lshl_b32 s7, s7, 6
	v_bfe_u32 v3, v0, 10, 10
	v_add_u32_e32 v7, s7, v3
	v_and_b32_e32 v2, 0x3ff, v0
	s_waitcnt lgkmcnt(0)
	v_mad_u64_u32 v[0:1], s[4:5], v7, s8, 0
	v_mov_b32_e32 v6, v1
	v_mad_u64_u32 v[6:7], s[4:5], v7, s9, v[6:7]
	v_mov_b32_e32 v1, v6
	s_lshl_b32 s10, s6, 6
	v_lshlrev_b64 v[0:1], 3, v[0:1]
	s_lshr_b32 s6, s11, 16
	v_add_u32_e32 v4, s10, v2
	v_mov_b32_e32 v5, 0
	v_mov_b32_e32 v6, s3
	v_add_co_u32_e32 v7, vcc, s2, v0
	s_mul_i32 s2, s9, s6
	s_mul_hi_u32 s3, s8, s6
	v_addc_co_u32_e32 v6, vcc, v6, v1, vcc
	v_lshlrev_b64 v[0:1], 3, v[4:5]
	s_add_i32 s3, s3, s2
	s_mul_i32 s2, s8, s6
	v_add_co_u32_e32 v0, vcc, v7, v0
	s_lshl_b64 s[2:3], s[2:3], 3
	v_lshlrev_b32_e32 v4, 3, v2
	s_movk_i32 s4, 0x208
	v_addc_co_u32_e32 v1, vcc, v6, v1, vcc
	v_mad_u32_u24 v4, v3, s4, v4
	s_mul_i32 s11, s6, 0x208
	s_mov_b64 s[4:5], 0
	v_mov_b32_e32 v5, s3
.LBB7_1:                                ; =>This Inner Loop Header: Depth=1
	global_load_dwordx2 v[6:7], v[0:1], off
	s_add_u32 s4, s4, s6
	v_add_co_u32_e32 v0, vcc, s2, v0
	s_addc_u32 s5, s5, 0
	v_addc_co_u32_e32 v1, vcc, v1, v5, vcc
	v_cmp_gt_u64_e64 s[12:13], s[4:5], 63
	s_and_b64 vcc, exec, s[12:13]
	s_waitcnt vmcnt(0)
	ds_write_b64 v4, v[6:7]
	v_add_u32_e32 v4, s11, v4
	s_cbranch_vccz .LBB7_1
; %bb.2:
	v_add_u32_e32 v7, s10, v3
	v_mad_u64_u32 v[4:5], s[4:5], v7, s8, 0
	v_mov_b32_e32 v6, v5
	v_mad_u64_u32 v[6:7], s[4:5], v7, s9, v[6:7]
	v_mov_b32_e32 v5, v6
	v_lshlrev_b64 v[4:5], 3, v[4:5]
	v_add_u32_e32 v0, s7, v2
	v_mov_b32_e32 v1, 0
	v_mov_b32_e32 v6, s1
	v_add_co_u32_e32 v4, vcc, s0, v4
	v_addc_co_u32_e32 v5, vcc, v6, v5, vcc
	v_lshlrev_b64 v[0:1], 3, v[0:1]
	v_add_co_u32_e32 v0, vcc, v4, v0
	v_lshlrev_b32_e32 v3, 3, v3
	s_movk_i32 s0, 0x208
	v_addc_co_u32_e32 v1, vcc, v5, v1, vcc
	v_mad_u32_u24 v2, v2, s0, v3
	s_lshl_b32 s7, s6, 3
	s_mov_b64 s[4:5], 0
	v_mov_b32_e32 v3, s3
	s_waitcnt lgkmcnt(0)
	s_barrier
.LBB7_3:                                ; =>This Inner Loop Header: Depth=1
	ds_read_b64 v[4:5], v2
	s_add_u32 s4, s4, s6
	s_addc_u32 s5, s5, 0
	v_cmp_gt_u64_e64 s[0:1], s[4:5], 63
	s_and_b64 vcc, exec, s[0:1]
	s_waitcnt lgkmcnt(0)
	global_store_dwordx2 v[0:1], v[4:5], off
	v_add_co_u32_e64 v0, s[0:1], s2, v0
	v_add_u32_e32 v2, s7, v2
	v_addc_co_u32_e64 v1, s[0:1], v1, v3, s[0:1]
	s_cbranch_vccz .LBB7_3
; %bb.4:
	s_endpgm
	.section	.rodata,"a",@progbits
	.p2align	6, 0x0
	.amdhsa_kernel _Z27transposeLdsNoBankConflictsIdEvPT_PKS0_m
		.amdhsa_group_segment_fixed_size 33280
		.amdhsa_private_segment_fixed_size 0
		.amdhsa_kernarg_size 280
		.amdhsa_user_sgpr_count 6
		.amdhsa_user_sgpr_private_segment_buffer 1
		.amdhsa_user_sgpr_dispatch_ptr 0
		.amdhsa_user_sgpr_queue_ptr 0
		.amdhsa_user_sgpr_kernarg_segment_ptr 1
		.amdhsa_user_sgpr_dispatch_id 0
		.amdhsa_user_sgpr_flat_scratch_init 0
		.amdhsa_user_sgpr_kernarg_preload_length 0
		.amdhsa_user_sgpr_kernarg_preload_offset 0
		.amdhsa_user_sgpr_private_segment_size 0
		.amdhsa_uses_dynamic_stack 0
		.amdhsa_system_sgpr_private_segment_wavefront_offset 0
		.amdhsa_system_sgpr_workgroup_id_x 1
		.amdhsa_system_sgpr_workgroup_id_y 1
		.amdhsa_system_sgpr_workgroup_id_z 0
		.amdhsa_system_sgpr_workgroup_info 0
		.amdhsa_system_vgpr_workitem_id 1
		.amdhsa_next_free_vgpr 8
		.amdhsa_next_free_sgpr 14
		.amdhsa_accum_offset 8
		.amdhsa_reserve_vcc 1
		.amdhsa_reserve_flat_scratch 0
		.amdhsa_float_round_mode_32 0
		.amdhsa_float_round_mode_16_64 0
		.amdhsa_float_denorm_mode_32 3
		.amdhsa_float_denorm_mode_16_64 3
		.amdhsa_dx10_clamp 1
		.amdhsa_ieee_mode 1
		.amdhsa_fp16_overflow 0
		.amdhsa_tg_split 0
		.amdhsa_exception_fp_ieee_invalid_op 0
		.amdhsa_exception_fp_denorm_src 0
		.amdhsa_exception_fp_ieee_div_zero 0
		.amdhsa_exception_fp_ieee_overflow 0
		.amdhsa_exception_fp_ieee_underflow 0
		.amdhsa_exception_fp_ieee_inexact 0
		.amdhsa_exception_int_div_zero 0
	.end_amdhsa_kernel
	.section	.text._Z27transposeLdsNoBankConflictsIdEvPT_PKS0_m,"axG",@progbits,_Z27transposeLdsNoBankConflictsIdEvPT_PKS0_m,comdat
.Lfunc_end7:
	.size	_Z27transposeLdsNoBankConflictsIdEvPT_PKS0_m, .Lfunc_end7-_Z27transposeLdsNoBankConflictsIdEvPT_PKS0_m
                                        ; -- End function
	.section	.AMDGPU.csdata,"",@progbits
; Kernel info:
; codeLenInByte = 412
; NumSgprs: 18
; NumVgprs: 8
; NumAgprs: 0
; TotalNumVgprs: 8
; ScratchSize: 0
; MemoryBound: 0
; FloatMode: 240
; IeeeMode: 1
; LDSByteSize: 33280 bytes/workgroup (compile time only)
; SGPRBlocks: 2
; VGPRBlocks: 0
; NumSGPRsForWavesPerEU: 18
; NumVGPRsForWavesPerEU: 8
; AccumOffset: 8
; Occupancy: 4
; WaveLimiterHint : 0
; COMPUTE_PGM_RSRC2:SCRATCH_EN: 0
; COMPUTE_PGM_RSRC2:USER_SGPR: 6
; COMPUTE_PGM_RSRC2:TRAP_HANDLER: 0
; COMPUTE_PGM_RSRC2:TGID_X_EN: 1
; COMPUTE_PGM_RSRC2:TGID_Y_EN: 1
; COMPUTE_PGM_RSRC2:TGID_Z_EN: 0
; COMPUTE_PGM_RSRC2:TIDIG_COMP_CNT: 1
; COMPUTE_PGM_RSRC3_GFX90A:ACCUM_OFFSET: 1
; COMPUTE_PGM_RSRC3_GFX90A:TG_SPLIT: 0
	.section	.text._Z23transposeLdsSwapInplaceIdEvPT_PKS0_m,"axG",@progbits,_Z23transposeLdsSwapInplaceIdEvPT_PKS0_m,comdat
	.protected	_Z23transposeLdsSwapInplaceIdEvPT_PKS0_m ; -- Begin function _Z23transposeLdsSwapInplaceIdEvPT_PKS0_m
	.globl	_Z23transposeLdsSwapInplaceIdEvPT_PKS0_m
	.p2align	8
	.type	_Z23transposeLdsSwapInplaceIdEvPT_PKS0_m,@function
_Z23transposeLdsSwapInplaceIdEvPT_PKS0_m: ; @_Z23transposeLdsSwapInplaceIdEvPT_PKS0_m
; %bb.0:
	s_load_dwordx4 s[8:11], s[4:5], 0x0
	s_load_dwordx2 s[2:3], s[4:5], 0x10
	v_and_b32_e32 v2, 0x3ff, v0
	v_bfe_u32 v0, v0, 10, 10
	s_lshl_b32 s6, s6, 6
	v_mov_b32_e32 v1, 0
	v_cmp_gt_u32_e32 vcc, 64, v0
	v_lshlrev_b32_e32 v8, 3, v2
	s_and_saveexec_b64 s[12:13], vcc
	s_cbranch_execz .LBB8_3
; %bb.1:
	s_load_dword s0, s[4:5], 0x24
	s_lshl_b32 s1, s7, 6
	v_add_u32_e32 v4, s6, v2
	v_mov_b32_e32 v5, v1
	v_lshlrev_b64 v[4:5], 3, v[4:5]
	s_waitcnt lgkmcnt(0)
	s_lshr_b32 s16, s0, 16
	v_add_co_u32_e64 v6, s[0:1], s1, v0
	v_addc_co_u32_e64 v7, s[0:1], 0, 0, s[0:1]
	v_mul_lo_u32 v9, s3, v6
	v_mul_lo_u32 v10, s2, v7
	v_mad_u64_u32 v[6:7], s[0:1], s2, v6, 0
	v_add3_u32 v7, v7, v10, v9
	v_lshlrev_b64 v[6:7], 3, v[6:7]
	v_add_co_u32_e64 v4, s[0:1], v6, v4
	v_addc_co_u32_e64 v5, s[0:1], v7, v5, s[0:1]
	v_mov_b32_e32 v6, s11
	v_add_co_u32_e64 v4, s[0:1], s10, v4
	v_addc_co_u32_e64 v5, s[0:1], v6, v5, s[0:1]
	s_mul_i32 s0, s3, s16
	s_mul_hi_u32 s1, s2, s16
	s_add_i32 s1, s1, s0
	s_mul_i32 s0, s2, s16
	s_mov_b32 s18, 0
	s_lshl_b64 s[10:11], s[0:1], 3
	v_lshl_add_u32 v3, v0, 9, v8
	s_lshl_b32 s17, s16, 9
	s_mov_b64 s[14:15], 0
	v_mov_b32_e32 v9, s18
	v_mov_b32_e32 v10, s11
	v_pk_mov_b32 v[6:7], v[0:1], v[0:1] op_sel:[0,1]
.LBB8_2:                                ; =>This Inner Loop Header: Depth=1
	global_load_dwordx2 v[12:13], v[4:5], off
	v_add_co_u32_e64 v6, s[0:1], s16, v6
	v_addc_co_u32_e64 v7, s[0:1], v7, v9, s[0:1]
	v_add_co_u32_e64 v4, s[0:1], s10, v4
	v_addc_co_u32_e64 v5, s[0:1], v5, v10, s[0:1]
	v_cmp_lt_u64_e64 s[0:1], 63, v[6:7]
	s_or_b64 s[14:15], s[0:1], s[14:15]
	s_waitcnt vmcnt(0)
	ds_write_b64 v3, v[12:13]
	v_add_u32_e32 v3, s17, v3
	s_andn2_b64 exec, exec, s[14:15]
	s_cbranch_execnz .LBB8_2
.LBB8_3:
	s_or_b64 exec, exec, s[12:13]
	s_waitcnt lgkmcnt(0)
	s_barrier
	s_and_saveexec_b64 s[10:11], vcc
	s_cbranch_execz .LBB8_8
; %bb.4:
	s_load_dword s0, s[4:5], 0x24
	s_mov_b32 s1, 0
	v_lshlrev_b32_e32 v4, 3, v0
	v_mov_b32_e32 v3, 0
	v_lshl_add_u32 v6, v0, 9, v8
	s_waitcnt lgkmcnt(0)
	s_lshr_b32 s16, s0, 16
	s_lshl_b32 s17, s16, 9
	v_lshl_add_u32 v7, v2, 9, v4
	s_lshl_b32 s18, s16, 3
	s_mov_b64 s[12:13], 0
	v_mov_b32_e32 v9, s1
	v_pk_mov_b32 v[4:5], v[0:1], v[0:1] op_sel:[0,1]
	s_branch .LBB8_6
.LBB8_5:                                ;   in Loop: Header=BB8_6 Depth=1
	s_or_b64 exec, exec, s[14:15]
	v_add_co_u32_e64 v4, s[0:1], s16, v4
	v_addc_co_u32_e64 v5, s[0:1], v5, v9, s[0:1]
	v_cmp_lt_u64_e64 s[0:1], 63, v[4:5]
	v_add_u32_e32 v6, s17, v6
	s_or_b64 s[12:13], s[0:1], s[12:13]
	v_add_u32_e32 v7, s18, v7
	s_andn2_b64 exec, exec, s[12:13]
	s_cbranch_execz .LBB8_8
.LBB8_6:                                ; =>This Inner Loop Header: Depth=1
	v_cmp_lt_u64_e64 s[0:1], v[4:5], v[2:3]
	s_and_saveexec_b64 s[14:15], s[0:1]
	s_cbranch_execz .LBB8_5
; %bb.7:                                ;   in Loop: Header=BB8_6 Depth=1
	ds_read_b64 v[10:11], v7
	ds_read_b64 v[12:13], v6
	s_waitcnt lgkmcnt(1)
	ds_write_b64 v6, v[10:11]
	s_waitcnt lgkmcnt(1)
	ds_write_b64 v7, v[12:13]
	s_branch .LBB8_5
.LBB8_8:
	s_or_b64 exec, exec, s[10:11]
	s_waitcnt lgkmcnt(0)
	s_barrier
	s_and_saveexec_b64 s[0:1], vcc
	s_cbranch_execz .LBB8_11
; %bb.9:
	s_load_dword s0, s[4:5], 0x24
	v_add_co_u32_e32 v5, vcc, s6, v0
	v_lshl_add_u32 v4, v0, 9, v8
	v_mul_lo_u32 v8, s3, v5
	s_waitcnt lgkmcnt(0)
	s_lshr_b32 s4, s0, 16
	v_addc_co_u32_e64 v6, s[0:1], 0, 0, vcc
	v_mul_lo_u32 v9, s2, v6
	v_mad_u64_u32 v[6:7], s[0:1], s2, v5, 0
	v_lshl_add_u32 v2, s7, 6, v2
	v_mov_b32_e32 v3, 0
	v_add3_u32 v7, v7, v9, v8
	v_lshlrev_b64 v[6:7], 3, v[6:7]
	v_lshlrev_b64 v[2:3], 3, v[2:3]
	v_add_co_u32_e32 v2, vcc, v6, v2
	s_mul_i32 s0, s3, s4
	s_mul_hi_u32 s1, s2, s4
	v_addc_co_u32_e32 v3, vcc, v7, v3, vcc
	s_add_i32 s1, s1, s0
	s_mul_i32 s0, s2, s4
	s_mov_b32 s7, 0
	v_mov_b32_e32 v5, s9
	v_add_co_u32_e32 v2, vcc, s8, v2
	s_lshl_b64 s[0:1], s[0:1], 3
	s_lshl_b32 s5, s4, 9
	v_addc_co_u32_e32 v3, vcc, v5, v3, vcc
	s_mov_b64 s[2:3], 0
	v_mov_b32_e32 v5, s7
	v_mov_b32_e32 v6, s1
.LBB8_10:                               ; =>This Inner Loop Header: Depth=1
	ds_read_b64 v[8:9], v4
	v_add_co_u32_e32 v0, vcc, s4, v0
	v_addc_co_u32_e32 v1, vcc, v1, v5, vcc
	v_cmp_lt_u64_e32 vcc, 63, v[0:1]
	s_or_b64 s[2:3], vcc, s[2:3]
	s_waitcnt lgkmcnt(0)
	global_store_dwordx2 v[2:3], v[8:9], off
	v_add_co_u32_e32 v2, vcc, s0, v2
	v_add_u32_e32 v4, s5, v4
	v_addc_co_u32_e32 v3, vcc, v3, v6, vcc
	s_andn2_b64 exec, exec, s[2:3]
	s_cbranch_execnz .LBB8_10
.LBB8_11:
	s_endpgm
	.section	.rodata,"a",@progbits
	.p2align	6, 0x0
	.amdhsa_kernel _Z23transposeLdsSwapInplaceIdEvPT_PKS0_m
		.amdhsa_group_segment_fixed_size 32768
		.amdhsa_private_segment_fixed_size 0
		.amdhsa_kernarg_size 280
		.amdhsa_user_sgpr_count 6
		.amdhsa_user_sgpr_private_segment_buffer 1
		.amdhsa_user_sgpr_dispatch_ptr 0
		.amdhsa_user_sgpr_queue_ptr 0
		.amdhsa_user_sgpr_kernarg_segment_ptr 1
		.amdhsa_user_sgpr_dispatch_id 0
		.amdhsa_user_sgpr_flat_scratch_init 0
		.amdhsa_user_sgpr_kernarg_preload_length 0
		.amdhsa_user_sgpr_kernarg_preload_offset 0
		.amdhsa_user_sgpr_private_segment_size 0
		.amdhsa_uses_dynamic_stack 0
		.amdhsa_system_sgpr_private_segment_wavefront_offset 0
		.amdhsa_system_sgpr_workgroup_id_x 1
		.amdhsa_system_sgpr_workgroup_id_y 1
		.amdhsa_system_sgpr_workgroup_id_z 0
		.amdhsa_system_sgpr_workgroup_info 0
		.amdhsa_system_vgpr_workitem_id 1
		.amdhsa_next_free_vgpr 14
		.amdhsa_next_free_sgpr 19
		.amdhsa_accum_offset 16
		.amdhsa_reserve_vcc 1
		.amdhsa_reserve_flat_scratch 0
		.amdhsa_float_round_mode_32 0
		.amdhsa_float_round_mode_16_64 0
		.amdhsa_float_denorm_mode_32 3
		.amdhsa_float_denorm_mode_16_64 3
		.amdhsa_dx10_clamp 1
		.amdhsa_ieee_mode 1
		.amdhsa_fp16_overflow 0
		.amdhsa_tg_split 0
		.amdhsa_exception_fp_ieee_invalid_op 0
		.amdhsa_exception_fp_denorm_src 0
		.amdhsa_exception_fp_ieee_div_zero 0
		.amdhsa_exception_fp_ieee_overflow 0
		.amdhsa_exception_fp_ieee_underflow 0
		.amdhsa_exception_fp_ieee_inexact 0
		.amdhsa_exception_int_div_zero 0
	.end_amdhsa_kernel
	.section	.text._Z23transposeLdsSwapInplaceIdEvPT_PKS0_m,"axG",@progbits,_Z23transposeLdsSwapInplaceIdEvPT_PKS0_m,comdat
.Lfunc_end8:
	.size	_Z23transposeLdsSwapInplaceIdEvPT_PKS0_m, .Lfunc_end8-_Z23transposeLdsSwapInplaceIdEvPT_PKS0_m
                                        ; -- End function
	.section	.AMDGPU.csdata,"",@progbits
; Kernel info:
; codeLenInByte = 752
; NumSgprs: 23
; NumVgprs: 14
; NumAgprs: 0
; TotalNumVgprs: 14
; ScratchSize: 0
; MemoryBound: 0
; FloatMode: 240
; IeeeMode: 1
; LDSByteSize: 32768 bytes/workgroup (compile time only)
; SGPRBlocks: 2
; VGPRBlocks: 1
; NumSGPRsForWavesPerEU: 23
; NumVGPRsForWavesPerEU: 14
; AccumOffset: 16
; Occupancy: 8
; WaveLimiterHint : 0
; COMPUTE_PGM_RSRC2:SCRATCH_EN: 0
; COMPUTE_PGM_RSRC2:USER_SGPR: 6
; COMPUTE_PGM_RSRC2:TRAP_HANDLER: 0
; COMPUTE_PGM_RSRC2:TGID_X_EN: 1
; COMPUTE_PGM_RSRC2:TGID_Y_EN: 1
; COMPUTE_PGM_RSRC2:TGID_Z_EN: 0
; COMPUTE_PGM_RSRC2:TIDIG_COMP_CNT: 1
; COMPUTE_PGM_RSRC3_GFX90A:ACCUM_OFFSET: 3
; COMPUTE_PGM_RSRC3_GFX90A:TG_SPLIT: 0
	.text
	.p2alignl 6, 3212836864
	.fill 256, 4, 3212836864
	.type	__hip_cuid_1b9960b00afc73fc,@object ; @__hip_cuid_1b9960b00afc73fc
	.section	.bss,"aw",@nobits
	.globl	__hip_cuid_1b9960b00afc73fc
__hip_cuid_1b9960b00afc73fc:
	.byte	0                               ; 0x0
	.size	__hip_cuid_1b9960b00afc73fc, 1

	.ident	"AMD clang version 19.0.0git (https://github.com/RadeonOpenCompute/llvm-project roc-6.4.0 25133 c7fe45cf4b819c5991fe208aaa96edf142730f1d)"
	.section	".note.GNU-stack","",@progbits
	.addrsig
	.addrsig_sym __hip_cuid_1b9960b00afc73fc
	.amdgpu_metadata
---
amdhsa.kernels:
  - .agpr_count:     0
    .args:
      - .address_space:  global
        .offset:         0
        .size:           8
        .value_kind:     global_buffer
      - .address_space:  global
        .offset:         8
        .size:           8
        .value_kind:     global_buffer
      - .offset:         16
        .size:           8
        .value_kind:     by_value
      - .offset:         24
        .size:           4
        .value_kind:     hidden_block_count_x
      - .offset:         28
        .size:           4
        .value_kind:     hidden_block_count_y
      - .offset:         32
        .size:           4
        .value_kind:     hidden_block_count_z
      - .offset:         36
        .size:           2
        .value_kind:     hidden_group_size_x
      - .offset:         38
        .size:           2
        .value_kind:     hidden_group_size_y
      - .offset:         40
        .size:           2
        .value_kind:     hidden_group_size_z
      - .offset:         42
        .size:           2
        .value_kind:     hidden_remainder_x
      - .offset:         44
        .size:           2
        .value_kind:     hidden_remainder_y
      - .offset:         46
        .size:           2
        .value_kind:     hidden_remainder_z
      - .offset:         64
        .size:           8
        .value_kind:     hidden_global_offset_x
      - .offset:         72
        .size:           8
        .value_kind:     hidden_global_offset_y
      - .offset:         80
        .size:           8
        .value_kind:     hidden_global_offset_z
      - .offset:         88
        .size:           2
        .value_kind:     hidden_grid_dims
    .group_segment_fixed_size: 0
    .kernarg_segment_align: 8
    .kernarg_segment_size: 280
    .language:       OpenCL C
    .language_version:
      - 2
      - 0
    .max_flat_workgroup_size: 1024
    .name:           _Z14transposeNaiveIiEvPT_PKS0_m
    .private_segment_fixed_size: 0
    .sgpr_count:     17
    .sgpr_spill_count: 0
    .symbol:         _Z14transposeNaiveIiEvPT_PKS0_m.kd
    .uniform_work_group_size: 1
    .uses_dynamic_stack: false
    .vgpr_count:     10
    .vgpr_spill_count: 0
    .wavefront_size: 64
  - .agpr_count:     0
    .args:
      - .address_space:  global
        .offset:         0
        .size:           8
        .value_kind:     global_buffer
      - .address_space:  global
        .offset:         8
        .size:           8
        .value_kind:     global_buffer
      - .offset:         16
        .size:           8
        .value_kind:     by_value
      - .offset:         24
        .size:           4
        .value_kind:     hidden_block_count_x
      - .offset:         28
        .size:           4
        .value_kind:     hidden_block_count_y
      - .offset:         32
        .size:           4
        .value_kind:     hidden_block_count_z
      - .offset:         36
        .size:           2
        .value_kind:     hidden_group_size_x
      - .offset:         38
        .size:           2
        .value_kind:     hidden_group_size_y
      - .offset:         40
        .size:           2
        .value_kind:     hidden_group_size_z
      - .offset:         42
        .size:           2
        .value_kind:     hidden_remainder_x
      - .offset:         44
        .size:           2
        .value_kind:     hidden_remainder_y
      - .offset:         46
        .size:           2
        .value_kind:     hidden_remainder_z
      - .offset:         64
        .size:           8
        .value_kind:     hidden_global_offset_x
      - .offset:         72
        .size:           8
        .value_kind:     hidden_global_offset_y
      - .offset:         80
        .size:           8
        .value_kind:     hidden_global_offset_z
      - .offset:         88
        .size:           2
        .value_kind:     hidden_grid_dims
    .group_segment_fixed_size: 16640
    .kernarg_segment_align: 8
    .kernarg_segment_size: 280
    .language:       OpenCL C
    .language_version:
      - 2
      - 0
    .max_flat_workgroup_size: 1024
    .name:           _Z27transposeLdsNoBankConflictsIiEvPT_PKS0_m
    .private_segment_fixed_size: 0
    .sgpr_count:     40
    .sgpr_spill_count: 0
    .symbol:         _Z27transposeLdsNoBankConflictsIiEvPT_PKS0_m.kd
    .uniform_work_group_size: 1
    .uses_dynamic_stack: false
    .vgpr_count:     18
    .vgpr_spill_count: 0
    .wavefront_size: 64
  - .agpr_count:     0
    .args:
      - .address_space:  global
        .offset:         0
        .size:           8
        .value_kind:     global_buffer
      - .address_space:  global
        .offset:         8
        .size:           8
        .value_kind:     global_buffer
      - .offset:         16
        .size:           8
        .value_kind:     by_value
      - .offset:         24
        .size:           4
        .value_kind:     hidden_block_count_x
      - .offset:         28
        .size:           4
        .value_kind:     hidden_block_count_y
      - .offset:         32
        .size:           4
        .value_kind:     hidden_block_count_z
      - .offset:         36
        .size:           2
        .value_kind:     hidden_group_size_x
      - .offset:         38
        .size:           2
        .value_kind:     hidden_group_size_y
      - .offset:         40
        .size:           2
        .value_kind:     hidden_group_size_z
      - .offset:         42
        .size:           2
        .value_kind:     hidden_remainder_x
      - .offset:         44
        .size:           2
        .value_kind:     hidden_remainder_y
      - .offset:         46
        .size:           2
        .value_kind:     hidden_remainder_z
      - .offset:         64
        .size:           8
        .value_kind:     hidden_global_offset_x
      - .offset:         72
        .size:           8
        .value_kind:     hidden_global_offset_y
      - .offset:         80
        .size:           8
        .value_kind:     hidden_global_offset_z
      - .offset:         88
        .size:           2
        .value_kind:     hidden_grid_dims
    .group_segment_fixed_size: 16384
    .kernarg_segment_align: 8
    .kernarg_segment_size: 280
    .language:       OpenCL C
    .language_version:
      - 2
      - 0
    .max_flat_workgroup_size: 1024
    .name:           _Z23transposeLdsSwapInplaceIiEvPT_PKS0_m
    .private_segment_fixed_size: 0
    .sgpr_count:     32
    .sgpr_spill_count: 0
    .symbol:         _Z23transposeLdsSwapInplaceIiEvPT_PKS0_m.kd
    .uniform_work_group_size: 1
    .uses_dynamic_stack: false
    .vgpr_count:     31
    .vgpr_spill_count: 0
    .wavefront_size: 64
  - .agpr_count:     0
    .args:
      - .address_space:  global
        .offset:         0
        .size:           8
        .value_kind:     global_buffer
      - .address_space:  global
        .offset:         8
        .size:           8
        .value_kind:     global_buffer
      - .offset:         16
        .size:           8
        .value_kind:     by_value
      - .offset:         24
        .size:           4
        .value_kind:     hidden_block_count_x
      - .offset:         28
        .size:           4
        .value_kind:     hidden_block_count_y
      - .offset:         32
        .size:           4
        .value_kind:     hidden_block_count_z
      - .offset:         36
        .size:           2
        .value_kind:     hidden_group_size_x
      - .offset:         38
        .size:           2
        .value_kind:     hidden_group_size_y
      - .offset:         40
        .size:           2
        .value_kind:     hidden_group_size_z
      - .offset:         42
        .size:           2
        .value_kind:     hidden_remainder_x
      - .offset:         44
        .size:           2
        .value_kind:     hidden_remainder_y
      - .offset:         46
        .size:           2
        .value_kind:     hidden_remainder_z
      - .offset:         64
        .size:           8
        .value_kind:     hidden_global_offset_x
      - .offset:         72
        .size:           8
        .value_kind:     hidden_global_offset_y
      - .offset:         80
        .size:           8
        .value_kind:     hidden_global_offset_z
      - .offset:         88
        .size:           2
        .value_kind:     hidden_grid_dims
    .group_segment_fixed_size: 0
    .kernarg_segment_align: 8
    .kernarg_segment_size: 280
    .language:       OpenCL C
    .language_version:
      - 2
      - 0
    .max_flat_workgroup_size: 1024
    .name:           _Z14transposeNaiveIfEvPT_PKS0_m
    .private_segment_fixed_size: 0
    .sgpr_count:     17
    .sgpr_spill_count: 0
    .symbol:         _Z14transposeNaiveIfEvPT_PKS0_m.kd
    .uniform_work_group_size: 1
    .uses_dynamic_stack: false
    .vgpr_count:     10
    .vgpr_spill_count: 0
    .wavefront_size: 64
  - .agpr_count:     0
    .args:
      - .address_space:  global
        .offset:         0
        .size:           8
        .value_kind:     global_buffer
      - .address_space:  global
        .offset:         8
        .size:           8
        .value_kind:     global_buffer
      - .offset:         16
        .size:           8
        .value_kind:     by_value
      - .offset:         24
        .size:           4
        .value_kind:     hidden_block_count_x
      - .offset:         28
        .size:           4
        .value_kind:     hidden_block_count_y
      - .offset:         32
        .size:           4
        .value_kind:     hidden_block_count_z
      - .offset:         36
        .size:           2
        .value_kind:     hidden_group_size_x
      - .offset:         38
        .size:           2
        .value_kind:     hidden_group_size_y
      - .offset:         40
        .size:           2
        .value_kind:     hidden_group_size_z
      - .offset:         42
        .size:           2
        .value_kind:     hidden_remainder_x
      - .offset:         44
        .size:           2
        .value_kind:     hidden_remainder_y
      - .offset:         46
        .size:           2
        .value_kind:     hidden_remainder_z
      - .offset:         64
        .size:           8
        .value_kind:     hidden_global_offset_x
      - .offset:         72
        .size:           8
        .value_kind:     hidden_global_offset_y
      - .offset:         80
        .size:           8
        .value_kind:     hidden_global_offset_z
      - .offset:         88
        .size:           2
        .value_kind:     hidden_grid_dims
    .group_segment_fixed_size: 16640
    .kernarg_segment_align: 8
    .kernarg_segment_size: 280
    .language:       OpenCL C
    .language_version:
      - 2
      - 0
    .max_flat_workgroup_size: 1024
    .name:           _Z27transposeLdsNoBankConflictsIfEvPT_PKS0_m
    .private_segment_fixed_size: 0
    .sgpr_count:     40
    .sgpr_spill_count: 0
    .symbol:         _Z27transposeLdsNoBankConflictsIfEvPT_PKS0_m.kd
    .uniform_work_group_size: 1
    .uses_dynamic_stack: false
    .vgpr_count:     18
    .vgpr_spill_count: 0
    .wavefront_size: 64
  - .agpr_count:     0
    .args:
      - .address_space:  global
        .offset:         0
        .size:           8
        .value_kind:     global_buffer
      - .address_space:  global
        .offset:         8
        .size:           8
        .value_kind:     global_buffer
      - .offset:         16
        .size:           8
        .value_kind:     by_value
      - .offset:         24
        .size:           4
        .value_kind:     hidden_block_count_x
      - .offset:         28
        .size:           4
        .value_kind:     hidden_block_count_y
      - .offset:         32
        .size:           4
        .value_kind:     hidden_block_count_z
      - .offset:         36
        .size:           2
        .value_kind:     hidden_group_size_x
      - .offset:         38
        .size:           2
        .value_kind:     hidden_group_size_y
      - .offset:         40
        .size:           2
        .value_kind:     hidden_group_size_z
      - .offset:         42
        .size:           2
        .value_kind:     hidden_remainder_x
      - .offset:         44
        .size:           2
        .value_kind:     hidden_remainder_y
      - .offset:         46
        .size:           2
        .value_kind:     hidden_remainder_z
      - .offset:         64
        .size:           8
        .value_kind:     hidden_global_offset_x
      - .offset:         72
        .size:           8
        .value_kind:     hidden_global_offset_y
      - .offset:         80
        .size:           8
        .value_kind:     hidden_global_offset_z
      - .offset:         88
        .size:           2
        .value_kind:     hidden_grid_dims
    .group_segment_fixed_size: 16384
    .kernarg_segment_align: 8
    .kernarg_segment_size: 280
    .language:       OpenCL C
    .language_version:
      - 2
      - 0
    .max_flat_workgroup_size: 1024
    .name:           _Z23transposeLdsSwapInplaceIfEvPT_PKS0_m
    .private_segment_fixed_size: 0
    .sgpr_count:     32
    .sgpr_spill_count: 0
    .symbol:         _Z23transposeLdsSwapInplaceIfEvPT_PKS0_m.kd
    .uniform_work_group_size: 1
    .uses_dynamic_stack: false
    .vgpr_count:     31
    .vgpr_spill_count: 0
    .wavefront_size: 64
  - .agpr_count:     0
    .args:
      - .address_space:  global
        .offset:         0
        .size:           8
        .value_kind:     global_buffer
      - .address_space:  global
        .offset:         8
        .size:           8
        .value_kind:     global_buffer
      - .offset:         16
        .size:           8
        .value_kind:     by_value
      - .offset:         24
        .size:           4
        .value_kind:     hidden_block_count_x
      - .offset:         28
        .size:           4
        .value_kind:     hidden_block_count_y
      - .offset:         32
        .size:           4
        .value_kind:     hidden_block_count_z
      - .offset:         36
        .size:           2
        .value_kind:     hidden_group_size_x
      - .offset:         38
        .size:           2
        .value_kind:     hidden_group_size_y
      - .offset:         40
        .size:           2
        .value_kind:     hidden_group_size_z
      - .offset:         42
        .size:           2
        .value_kind:     hidden_remainder_x
      - .offset:         44
        .size:           2
        .value_kind:     hidden_remainder_y
      - .offset:         46
        .size:           2
        .value_kind:     hidden_remainder_z
      - .offset:         64
        .size:           8
        .value_kind:     hidden_global_offset_x
      - .offset:         72
        .size:           8
        .value_kind:     hidden_global_offset_y
      - .offset:         80
        .size:           8
        .value_kind:     hidden_global_offset_z
      - .offset:         88
        .size:           2
        .value_kind:     hidden_grid_dims
    .group_segment_fixed_size: 0
    .kernarg_segment_align: 8
    .kernarg_segment_size: 280
    .language:       OpenCL C
    .language_version:
      - 2
      - 0
    .max_flat_workgroup_size: 1024
    .name:           _Z14transposeNaiveIdEvPT_PKS0_m
    .private_segment_fixed_size: 0
    .sgpr_count:     17
    .sgpr_spill_count: 0
    .symbol:         _Z14transposeNaiveIdEvPT_PKS0_m.kd
    .uniform_work_group_size: 1
    .uses_dynamic_stack: false
    .vgpr_count:     12
    .vgpr_spill_count: 0
    .wavefront_size: 64
  - .agpr_count:     0
    .args:
      - .address_space:  global
        .offset:         0
        .size:           8
        .value_kind:     global_buffer
      - .address_space:  global
        .offset:         8
        .size:           8
        .value_kind:     global_buffer
      - .offset:         16
        .size:           8
        .value_kind:     by_value
      - .offset:         24
        .size:           4
        .value_kind:     hidden_block_count_x
      - .offset:         28
        .size:           4
        .value_kind:     hidden_block_count_y
      - .offset:         32
        .size:           4
        .value_kind:     hidden_block_count_z
      - .offset:         36
        .size:           2
        .value_kind:     hidden_group_size_x
      - .offset:         38
        .size:           2
        .value_kind:     hidden_group_size_y
      - .offset:         40
        .size:           2
        .value_kind:     hidden_group_size_z
      - .offset:         42
        .size:           2
        .value_kind:     hidden_remainder_x
      - .offset:         44
        .size:           2
        .value_kind:     hidden_remainder_y
      - .offset:         46
        .size:           2
        .value_kind:     hidden_remainder_z
      - .offset:         64
        .size:           8
        .value_kind:     hidden_global_offset_x
      - .offset:         72
        .size:           8
        .value_kind:     hidden_global_offset_y
      - .offset:         80
        .size:           8
        .value_kind:     hidden_global_offset_z
      - .offset:         88
        .size:           2
        .value_kind:     hidden_grid_dims
    .group_segment_fixed_size: 33280
    .kernarg_segment_align: 8
    .kernarg_segment_size: 280
    .language:       OpenCL C
    .language_version:
      - 2
      - 0
    .max_flat_workgroup_size: 1024
    .name:           _Z27transposeLdsNoBankConflictsIdEvPT_PKS0_m
    .private_segment_fixed_size: 0
    .sgpr_count:     18
    .sgpr_spill_count: 0
    .symbol:         _Z27transposeLdsNoBankConflictsIdEvPT_PKS0_m.kd
    .uniform_work_group_size: 1
    .uses_dynamic_stack: false
    .vgpr_count:     8
    .vgpr_spill_count: 0
    .wavefront_size: 64
  - .agpr_count:     0
    .args:
      - .address_space:  global
        .offset:         0
        .size:           8
        .value_kind:     global_buffer
      - .address_space:  global
        .offset:         8
        .size:           8
        .value_kind:     global_buffer
      - .offset:         16
        .size:           8
        .value_kind:     by_value
      - .offset:         24
        .size:           4
        .value_kind:     hidden_block_count_x
      - .offset:         28
        .size:           4
        .value_kind:     hidden_block_count_y
      - .offset:         32
        .size:           4
        .value_kind:     hidden_block_count_z
      - .offset:         36
        .size:           2
        .value_kind:     hidden_group_size_x
      - .offset:         38
        .size:           2
        .value_kind:     hidden_group_size_y
      - .offset:         40
        .size:           2
        .value_kind:     hidden_group_size_z
      - .offset:         42
        .size:           2
        .value_kind:     hidden_remainder_x
      - .offset:         44
        .size:           2
        .value_kind:     hidden_remainder_y
      - .offset:         46
        .size:           2
        .value_kind:     hidden_remainder_z
      - .offset:         64
        .size:           8
        .value_kind:     hidden_global_offset_x
      - .offset:         72
        .size:           8
        .value_kind:     hidden_global_offset_y
      - .offset:         80
        .size:           8
        .value_kind:     hidden_global_offset_z
      - .offset:         88
        .size:           2
        .value_kind:     hidden_grid_dims
    .group_segment_fixed_size: 32768
    .kernarg_segment_align: 8
    .kernarg_segment_size: 280
    .language:       OpenCL C
    .language_version:
      - 2
      - 0
    .max_flat_workgroup_size: 1024
    .name:           _Z23transposeLdsSwapInplaceIdEvPT_PKS0_m
    .private_segment_fixed_size: 0
    .sgpr_count:     23
    .sgpr_spill_count: 0
    .symbol:         _Z23transposeLdsSwapInplaceIdEvPT_PKS0_m.kd
    .uniform_work_group_size: 1
    .uses_dynamic_stack: false
    .vgpr_count:     14
    .vgpr_spill_count: 0
    .wavefront_size: 64
amdhsa.target:   amdgcn-amd-amdhsa--gfx90a
amdhsa.version:
  - 1
  - 2
...

	.end_amdgpu_metadata
